;; amdgpu-corpus repo=ROCm/rocFFT kind=compiled arch=gfx950 opt=O3
	.text
	.amdgcn_target "amdgcn-amd-amdhsa--gfx950"
	.amdhsa_code_object_version 6
	.protected	fft_rtc_back_len2023_factors_17_7_17_wgs_119_tpt_119_halfLds_sp_op_CI_CI_sbrr_dirReg ; -- Begin function fft_rtc_back_len2023_factors_17_7_17_wgs_119_tpt_119_halfLds_sp_op_CI_CI_sbrr_dirReg
	.globl	fft_rtc_back_len2023_factors_17_7_17_wgs_119_tpt_119_halfLds_sp_op_CI_CI_sbrr_dirReg
	.p2align	8
	.type	fft_rtc_back_len2023_factors_17_7_17_wgs_119_tpt_119_halfLds_sp_op_CI_CI_sbrr_dirReg,@function
fft_rtc_back_len2023_factors_17_7_17_wgs_119_tpt_119_halfLds_sp_op_CI_CI_sbrr_dirReg: ; @fft_rtc_back_len2023_factors_17_7_17_wgs_119_tpt_119_halfLds_sp_op_CI_CI_sbrr_dirReg
; %bb.0:
	s_load_dwordx4 s[12:15], s[0:1], 0x18
	s_load_dwordx4 s[8:11], s[0:1], 0x0
	;; [unrolled: 1-line block ×3, first 2 shown]
	v_mul_u32_u24_e32 v1, 0x227, v0
	v_add_u32_sdwa v8, s2, v1 dst_sel:DWORD dst_unused:UNUSED_PAD src0_sel:DWORD src1_sel:WORD_1
	s_waitcnt lgkmcnt(0)
	s_load_dwordx2 s[18:19], s[12:13], 0x0
	s_load_dwordx2 s[16:17], s[14:15], 0x0
	v_mov_b32_e32 v6, 0
	v_cmp_lt_u64_e64 s[2:3], s[10:11], 2
	v_mov_b32_e32 v9, v6
	s_and_b64 vcc, exec, s[2:3]
	v_mov_b64_e32 v[40:41], 0
	s_cbranch_vccnz .LBB0_8
; %bb.1:
	s_load_dwordx2 s[2:3], s[0:1], 0x10
	s_add_u32 s20, s14, 8
	s_addc_u32 s21, s15, 0
	s_add_u32 s22, s12, 8
	s_addc_u32 s23, s13, 0
	s_waitcnt lgkmcnt(0)
	s_add_u32 s24, s2, 8
	v_mov_b64_e32 v[40:41], 0
	s_addc_u32 s25, s3, 0
	s_mov_b64 s[26:27], 1
	v_mov_b64_e32 v[2:3], v[40:41]
.LBB0_2:                                ; =>This Inner Loop Header: Depth=1
	s_load_dwordx2 s[28:29], s[24:25], 0x0
                                        ; implicit-def: $vgpr4_vgpr5
	s_waitcnt lgkmcnt(0)
	v_or_b32_e32 v7, s29, v9
	v_cmp_ne_u64_e32 vcc, 0, v[6:7]
	s_and_saveexec_b64 s[2:3], vcc
	s_xor_b64 s[30:31], exec, s[2:3]
	s_cbranch_execz .LBB0_4
; %bb.3:                                ;   in Loop: Header=BB0_2 Depth=1
	v_cvt_f32_u32_e32 v1, s28
	v_cvt_f32_u32_e32 v4, s29
	s_sub_u32 s2, 0, s28
	s_subb_u32 s3, 0, s29
	v_fmac_f32_e32 v1, 0x4f800000, v4
	v_rcp_f32_e32 v1, v1
	s_nop 0
	v_mul_f32_e32 v1, 0x5f7ffffc, v1
	v_mul_f32_e32 v4, 0x2f800000, v1
	v_trunc_f32_e32 v4, v4
	v_fmac_f32_e32 v1, 0xcf800000, v4
	v_cvt_u32_f32_e32 v7, v4
	v_cvt_u32_f32_e32 v1, v1
	v_mul_lo_u32 v4, s2, v7
	v_mul_hi_u32 v10, s2, v1
	v_mul_lo_u32 v5, s3, v1
	v_add_u32_e32 v10, v10, v4
	v_mul_lo_u32 v12, s2, v1
	v_add_u32_e32 v13, v10, v5
	v_mul_hi_u32 v4, v1, v12
	v_mul_hi_u32 v11, v1, v13
	v_mul_lo_u32 v10, v1, v13
	v_mov_b32_e32 v5, v6
	v_lshl_add_u64 v[4:5], v[4:5], 0, v[10:11]
	v_mul_hi_u32 v11, v7, v12
	v_mul_lo_u32 v12, v7, v12
	v_add_co_u32_e32 v4, vcc, v4, v12
	v_mul_hi_u32 v10, v7, v13
	s_nop 0
	v_addc_co_u32_e32 v4, vcc, v5, v11, vcc
	v_mov_b32_e32 v5, v6
	s_nop 0
	v_addc_co_u32_e32 v11, vcc, 0, v10, vcc
	v_mul_lo_u32 v10, v7, v13
	v_lshl_add_u64 v[4:5], v[4:5], 0, v[10:11]
	v_add_co_u32_e32 v1, vcc, v1, v4
	v_mul_lo_u32 v10, s2, v1
	s_nop 0
	v_addc_co_u32_e32 v7, vcc, v7, v5, vcc
	v_mul_lo_u32 v4, s2, v7
	v_mul_hi_u32 v5, s2, v1
	v_add_u32_e32 v4, v5, v4
	v_mul_lo_u32 v5, s3, v1
	v_add_u32_e32 v12, v4, v5
	v_mul_hi_u32 v14, v7, v10
	v_mul_lo_u32 v15, v7, v10
	v_mul_hi_u32 v5, v1, v12
	v_mul_lo_u32 v4, v1, v12
	v_mul_hi_u32 v10, v1, v10
	v_mov_b32_e32 v11, v6
	v_lshl_add_u64 v[4:5], v[10:11], 0, v[4:5]
	v_add_co_u32_e32 v4, vcc, v4, v15
	v_mul_hi_u32 v13, v7, v12
	s_nop 0
	v_addc_co_u32_e32 v4, vcc, v5, v14, vcc
	v_mul_lo_u32 v10, v7, v12
	s_nop 0
	v_addc_co_u32_e32 v11, vcc, 0, v13, vcc
	v_mov_b32_e32 v5, v6
	v_lshl_add_u64 v[4:5], v[4:5], 0, v[10:11]
	v_add_co_u32_e32 v1, vcc, v1, v4
	v_mul_hi_u32 v10, v8, v1
	s_nop 0
	v_addc_co_u32_e32 v7, vcc, v7, v5, vcc
	v_mad_u64_u32 v[4:5], s[2:3], v8, v7, 0
	v_mov_b32_e32 v11, v6
	v_lshl_add_u64 v[4:5], v[10:11], 0, v[4:5]
	v_mad_u64_u32 v[12:13], s[2:3], v9, v1, 0
	v_add_co_u32_e32 v1, vcc, v4, v12
	v_mad_u64_u32 v[10:11], s[2:3], v9, v7, 0
	s_nop 0
	v_addc_co_u32_e32 v4, vcc, v5, v13, vcc
	v_mov_b32_e32 v5, v6
	s_nop 0
	v_addc_co_u32_e32 v11, vcc, 0, v11, vcc
	v_lshl_add_u64 v[4:5], v[4:5], 0, v[10:11]
	v_mul_lo_u32 v1, s29, v4
	v_mul_lo_u32 v7, s28, v5
	v_mad_u64_u32 v[10:11], s[2:3], s28, v4, 0
	v_add3_u32 v1, v11, v7, v1
	v_sub_u32_e32 v7, v9, v1
	v_mov_b32_e32 v11, s29
	v_sub_co_u32_e32 v14, vcc, v8, v10
	v_lshl_add_u64 v[12:13], v[4:5], 0, 1
	s_nop 0
	v_subb_co_u32_e64 v7, s[2:3], v7, v11, vcc
	v_subrev_co_u32_e64 v10, s[2:3], s28, v14
	v_subb_co_u32_e32 v1, vcc, v9, v1, vcc
	s_nop 0
	v_subbrev_co_u32_e64 v7, s[2:3], 0, v7, s[2:3]
	v_cmp_le_u32_e64 s[2:3], s29, v7
	v_cmp_le_u32_e32 vcc, s29, v1
	s_nop 0
	v_cndmask_b32_e64 v11, 0, -1, s[2:3]
	v_cmp_le_u32_e64 s[2:3], s28, v10
	s_nop 1
	v_cndmask_b32_e64 v10, 0, -1, s[2:3]
	v_cmp_eq_u32_e64 s[2:3], s29, v7
	s_nop 1
	v_cndmask_b32_e64 v7, v11, v10, s[2:3]
	v_lshl_add_u64 v[10:11], v[4:5], 0, 2
	v_cmp_ne_u32_e64 s[2:3], 0, v7
	s_nop 1
	v_cndmask_b32_e64 v7, v13, v11, s[2:3]
	v_cndmask_b32_e64 v11, 0, -1, vcc
	v_cmp_le_u32_e32 vcc, s28, v14
	s_nop 1
	v_cndmask_b32_e64 v13, 0, -1, vcc
	v_cmp_eq_u32_e32 vcc, s29, v1
	s_nop 1
	v_cndmask_b32_e32 v1, v11, v13, vcc
	v_cmp_ne_u32_e32 vcc, 0, v1
	v_cndmask_b32_e64 v1, v12, v10, s[2:3]
	s_nop 0
	v_cndmask_b32_e32 v5, v5, v7, vcc
	v_cndmask_b32_e32 v4, v4, v1, vcc
.LBB0_4:                                ;   in Loop: Header=BB0_2 Depth=1
	s_andn2_saveexec_b64 s[2:3], s[30:31]
	s_cbranch_execz .LBB0_6
; %bb.5:                                ;   in Loop: Header=BB0_2 Depth=1
	v_cvt_f32_u32_e32 v1, s28
	s_sub_i32 s30, 0, s28
	v_rcp_iflag_f32_e32 v1, v1
	s_nop 0
	v_mul_f32_e32 v1, 0x4f7ffffe, v1
	v_cvt_u32_f32_e32 v1, v1
	v_mul_lo_u32 v4, s30, v1
	v_mul_hi_u32 v4, v1, v4
	v_add_u32_e32 v1, v1, v4
	v_mul_hi_u32 v1, v8, v1
	v_mul_lo_u32 v4, v1, s28
	v_sub_u32_e32 v4, v8, v4
	v_add_u32_e32 v5, 1, v1
	v_subrev_u32_e32 v7, s28, v4
	v_cmp_le_u32_e32 vcc, s28, v4
	s_nop 1
	v_cndmask_b32_e32 v4, v4, v7, vcc
	v_cndmask_b32_e32 v1, v1, v5, vcc
	v_add_u32_e32 v5, 1, v1
	v_cmp_le_u32_e32 vcc, s28, v4
	s_nop 1
	v_cndmask_b32_e32 v4, v1, v5, vcc
	v_mov_b32_e32 v5, v6
.LBB0_6:                                ;   in Loop: Header=BB0_2 Depth=1
	s_or_b64 exec, exec, s[2:3]
	v_mad_u64_u32 v[10:11], s[2:3], v4, s28, 0
	s_load_dwordx2 s[2:3], s[22:23], 0x0
	v_mul_lo_u32 v1, v5, s28
	v_mul_lo_u32 v7, v4, s29
	s_load_dwordx2 s[28:29], s[20:21], 0x0
	s_add_u32 s26, s26, 1
	v_add3_u32 v1, v11, v7, v1
	v_sub_co_u32_e32 v7, vcc, v8, v10
	s_addc_u32 s27, s27, 0
	s_nop 0
	v_subb_co_u32_e32 v1, vcc, v9, v1, vcc
	s_add_u32 s20, s20, 8
	s_waitcnt lgkmcnt(0)
	v_mul_lo_u32 v8, s2, v1
	v_mul_lo_u32 v9, s3, v7
	v_mad_u64_u32 v[40:41], s[2:3], s2, v7, v[40:41]
	s_addc_u32 s21, s21, 0
	v_add3_u32 v41, v9, v41, v8
	v_mul_lo_u32 v1, s28, v1
	v_mul_lo_u32 v8, s29, v7
	v_mad_u64_u32 v[2:3], s[2:3], s28, v7, v[2:3]
	s_add_u32 s22, s22, 8
	v_add3_u32 v3, v8, v3, v1
	s_addc_u32 s23, s23, 0
	v_mov_b64_e32 v[8:9], s[10:11]
	s_add_u32 s24, s24, 8
	v_cmp_ge_u64_e32 vcc, s[26:27], v[8:9]
	s_addc_u32 s25, s25, 0
	s_cbranch_vccnz .LBB0_9
; %bb.7:                                ;   in Loop: Header=BB0_2 Depth=1
	v_mov_b64_e32 v[8:9], v[4:5]
	s_branch .LBB0_2
.LBB0_8:
	v_mov_b64_e32 v[2:3], v[40:41]
	v_mov_b64_e32 v[4:5], v[8:9]
.LBB0_9:
	s_load_dwordx2 s[0:1], s[0:1], 0x28
	s_lshl_b64 s[10:11], s[10:11], 3
	s_add_u32 s2, s14, s10
	s_addc_u32 s3, s15, s11
                                        ; implicit-def: $sgpr14_sgpr15
                                        ; implicit-def: $sgpr20
                                        ; implicit-def: $vgpr68
                                        ; implicit-def: $vgpr70
                                        ; implicit-def: $vgpr69
	s_waitcnt lgkmcnt(0)
	v_cmp_gt_u64_e32 vcc, s[0:1], v[4:5]
	v_cmp_le_u64_e64 s[0:1], s[0:1], v[4:5]
	s_and_saveexec_b64 s[22:23], s[0:1]
	s_xor_b64 s[0:1], exec, s[22:23]
; %bb.10:
	s_mov_b32 s14, 0x226b903
	v_mul_hi_u32 v1, v0, s14
	v_mul_u32_u24_e32 v1, 0x77, v1
	v_sub_u32_e32 v68, v0, v1
	v_add_u32_e32 v70, 0x77, v68
	v_add_u32_e32 v69, 0xee, v68
	s_mov_b32 s20, 0
	s_mov_b64 s[14:15], 0
                                        ; implicit-def: $vgpr0
                                        ; implicit-def: $vgpr40_vgpr41
; %bb.11:
	s_or_saveexec_b64 s[0:1], s[0:1]
	v_mov_b32_e32 v86, s20
	v_mov_b64_e32 v[6:7], s[14:15]
                                        ; implicit-def: $vgpr22
                                        ; implicit-def: $vgpr24
                                        ; implicit-def: $vgpr8
                                        ; implicit-def: $vgpr12
                                        ; implicit-def: $vgpr28
                                        ; implicit-def: $vgpr30
                                        ; implicit-def: $vgpr14
                                        ; implicit-def: $vgpr18
                                        ; implicit-def: $vgpr32
                                        ; implicit-def: $vgpr34
                                        ; implicit-def: $vgpr16
                                        ; implicit-def: $vgpr26
                                        ; implicit-def: $vgpr36
                                        ; implicit-def: $vgpr38
                                        ; implicit-def: $vgpr10
                                        ; implicit-def: $vgpr20
	s_xor_b64 exec, exec, s[0:1]
	s_cbranch_execz .LBB0_13
; %bb.12:
	s_add_u32 s10, s12, s10
	s_addc_u32 s11, s13, s11
	s_load_dwordx2 s[10:11], s[10:11], 0x0
	s_mov_b32 s12, 0x226b903
	s_waitcnt lgkmcnt(0)
	v_mul_lo_u32 v1, s11, v4
	v_mul_lo_u32 v8, s10, v5
	v_mad_u64_u32 v[6:7], s[10:11], s10, v4, 0
	v_add3_u32 v7, v7, v8, v1
	v_mul_hi_u32 v1, v0, s12
	v_mul_u32_u24_e32 v1, 0x77, v1
	v_sub_u32_e32 v68, v0, v1
	v_mad_u64_u32 v[0:1], s[10:11], s18, v68, 0
	v_mov_b32_e32 v8, v1
	v_add_u32_e32 v70, 0x77, v68
	v_mad_u64_u32 v[22:23], s[10:11], s19, v68, v[8:9]
	v_lshl_add_u64 v[6:7], v[6:7], 3, s[4:5]
	v_mad_u64_u32 v[8:9], s[4:5], s18, v70, 0
	v_mov_b32_e32 v10, v9
	v_mad_u64_u32 v[10:11], s[4:5], s19, v70, v[10:11]
	v_add_u32_e32 v69, 0xee, v68
	v_mov_b32_e32 v9, v10
	v_mad_u64_u32 v[10:11], s[4:5], s18, v69, 0
	v_mov_b32_e32 v12, v11
	v_mad_u64_u32 v[12:13], s[4:5], s19, v69, v[12:13]
	v_lshl_add_u64 v[6:7], v[40:41], 3, v[6:7]
	v_mov_b32_e32 v11, v12
	v_add_u32_e32 v1, 0x165, v68
	v_lshl_add_u64 v[12:13], v[10:11], 3, v[6:7]
	v_mad_u64_u32 v[10:11], s[4:5], s18, v1, 0
	v_mov_b32_e32 v14, v11
	v_mad_u64_u32 v[14:15], s[4:5], s19, v1, v[14:15]
	v_lshl_add_u64 v[8:9], v[8:9], 3, v[6:7]
	v_mov_b32_e32 v11, v14
	v_add_u32_e32 v1, 0x1dc, v68
	v_lshl_add_u64 v[14:15], v[10:11], 3, v[6:7]
	global_load_dwordx2 v[10:11], v[8:9], off
	global_load_dwordx2 v[40:41], v[12:13], off
	;; [unrolled: 1-line block ×3, first 2 shown]
	v_mad_u64_u32 v[8:9], s[4:5], s18, v1, 0
	v_mov_b32_e32 v12, v9
	v_mad_u64_u32 v[12:13], s[4:5], s19, v1, v[12:13]
	v_mov_b32_e32 v9, v12
	v_add_u32_e32 v1, 0x253, v68
	v_lshl_add_u64 v[12:13], v[8:9], 3, v[6:7]
	v_mad_u64_u32 v[8:9], s[4:5], s18, v1, 0
	v_mov_b32_e32 v14, v9
	v_mad_u64_u32 v[14:15], s[4:5], s19, v1, v[14:15]
	v_mov_b32_e32 v9, v14
	v_add_u32_e32 v1, 0x2ca, v68
	v_lshl_add_u64 v[18:19], v[8:9], 3, v[6:7]
	v_mad_u64_u32 v[8:9], s[4:5], s18, v1, 0
	v_mov_b32_e32 v14, v9
	v_mad_u64_u32 v[14:15], s[4:5], s19, v1, v[14:15]
	v_mov_b32_e32 v9, v14
	v_add_u32_e32 v1, 0x341, v68
	v_lshl_add_u64 v[20:21], v[8:9], 3, v[6:7]
	v_mad_u64_u32 v[8:9], s[4:5], s18, v1, 0
	v_mov_b32_e32 v14, v9
	v_mad_u64_u32 v[14:15], s[4:5], s19, v1, v[14:15]
	v_mov_b32_e32 v9, v14
	v_add_u32_e32 v1, 0x3b8, v68
	v_lshl_add_u64 v[24:25], v[8:9], 3, v[6:7]
	global_load_dwordx2 v[36:37], v[12:13], off
	global_load_dwordx2 v[32:33], v[18:19], off
	;; [unrolled: 1-line block ×4, first 2 shown]
	v_mad_u64_u32 v[12:13], s[4:5], s18, v1, 0
	v_mov_b32_e32 v18, v13
	v_mad_u64_u32 v[18:19], s[4:5], s19, v1, v[18:19]
	v_mov_b32_e32 v13, v18
	v_add_u32_e32 v1, 0x42f, v68
	v_lshl_add_u64 v[20:21], v[12:13], 3, v[6:7]
	v_mad_u64_u32 v[12:13], s[4:5], s18, v1, 0
	v_mov_b32_e32 v18, v13
	v_mad_u64_u32 v[18:19], s[4:5], s19, v1, v[18:19]
	v_mov_b32_e32 v13, v18
	v_add_u32_e32 v1, 0x4a6, v68
	v_lshl_add_u64 v[24:25], v[12:13], 3, v[6:7]
	;; [unrolled: 6-line block ×4, first 2 shown]
	global_load_dwordx2 v[30:31], v[20:21], off
	global_load_dwordx2 v[34:35], v[24:25], off
	;; [unrolled: 1-line block ×4, first 2 shown]
	v_mad_u64_u32 v[20:21], s[4:5], s18, v1, 0
	v_mov_b32_e32 v24, v21
	v_mad_u64_u32 v[24:25], s[4:5], s19, v1, v[24:25]
	v_add_u32_e32 v1, 0x60b, v68
	v_mov_b32_e32 v21, v24
	v_mad_u64_u32 v[24:25], s[4:5], s18, v1, 0
	v_mov_b32_e32 v26, v25
	v_mad_u64_u32 v[26:27], s[4:5], s19, v1, v[26:27]
	v_add_u32_e32 v1, 0x682, v68
	v_mov_b32_e32 v25, v26
	v_mad_u64_u32 v[26:27], s[4:5], s18, v1, 0
	v_mov_b32_e32 v28, v27
	v_mad_u64_u32 v[28:29], s[4:5], s19, v1, v[28:29]
	v_mov_b32_e32 v27, v28
	v_add_u32_e32 v1, 0x6f9, v68
	v_lshl_add_u64 v[28:29], v[26:27], 3, v[6:7]
	v_mad_u64_u32 v[26:27], s[4:5], s18, v1, 0
	v_mov_b32_e32 v38, v27
	v_mad_u64_u32 v[38:39], s[4:5], s19, v1, v[38:39]
	v_lshl_add_u64 v[20:21], v[20:21], 3, v[6:7]
	v_mov_b32_e32 v27, v38
	v_lshl_add_u64 v[24:25], v[24:25], 3, v[6:7]
	global_load_dwordx2 v[38:39], v[20:21], off
	v_lshl_add_u64 v[20:21], v[26:27], 3, v[6:7]
	v_add_u32_e32 v1, 0x770, v68
	global_load_dwordx2 v[42:43], v[24:25], off
	global_load_dwordx2 v[26:27], v[28:29], off
	;; [unrolled: 1-line block ×3, first 2 shown]
	v_mad_u64_u32 v[20:21], s[4:5], s18, v1, 0
	v_mov_b32_e32 v24, v21
	v_mad_u64_u32 v[24:25], s[4:5], s19, v1, v[24:25]
	v_mov_b32_e32 v21, v24
	v_lshl_add_u64 v[20:21], v[20:21], 3, v[6:7]
	v_mov_b32_e32 v1, v22
	global_load_dwordx2 v[20:21], v[20:21], off
	v_lshl_add_u64 v[0:1], v[0:1], 3, v[6:7]
	global_load_dwordx2 v[6:7], v[0:1], off
	v_mov_b32_e32 v86, v68
	s_waitcnt vmcnt(10)
	v_mov_b32_e32 v23, v8
	v_mov_b32_e32 v28, v32
	v_mov_b32_e32 v29, v14
	v_mov_b32_e32 v14, v33
	v_mov_b32_e32 v32, v36
	v_mov_b32_e32 v33, v16
	v_mov_b32_e32 v16, v37
	v_mov_b32_e32 v36, v40
	v_mov_b32_e32 v37, v10
	v_mov_b32_e32 v10, v41
	s_waitcnt vmcnt(9)
	v_mov_b32_e32 v22, v30
	s_waitcnt vmcnt(8)
	v_mov_b32_e32 v24, v34
	;; [unrolled: 2-line block ×3, first 2 shown]
	v_mov_b32_e32 v8, v31
	v_mov_b32_e32 v12, v35
	s_waitcnt vmcnt(6)
	v_mov_b32_e32 v31, v18
	s_waitcnt vmcnt(5)
	v_mov_b32_e32 v30, v38
	v_mov_b32_e32 v18, v39
	s_waitcnt vmcnt(4)
	v_mov_b32_e32 v34, v42
	s_waitcnt vmcnt(3)
	;; [unrolled: 5-line block ×3, first 2 shown]
	v_mov_b32_e32 v39, v20
	v_mov_b32_e32 v20, v45
.LBB0_13:
	s_or_b64 exec, exec, s[0:1]
	s_mov_b32 s19, 0xbf4c4adb
	v_pk_add_f32 v[40:41], v[10:11], v[20:21] neg_lo:[0,1] neg_hi:[0,1]
	s_mov_b32 s27, 0xbf65296c
	s_mov_b32 s26, s19
	s_mov_b32 s14, 0xbf7ba420
	s_mov_b32 s11, 0x3f3d2fb0
	v_pk_mul_f32 v[44:45], v[40:41], s[26:27]
	s_mov_b32 s26, 0x3eb8f4ab
	s_mov_b32 s31, 0xbf06c442
	v_pk_add_f32 v[0:1], v[36:37], v[38:39]
	s_mov_b32 s15, 0xbf1a4643
	s_mov_b32 s22, 0x3dbcf732
	;; [unrolled: 1-line block ×6, first 2 shown]
	v_pk_add_f32 v[46:47], v[8:9], v[12:13] neg_lo:[0,1] neg_hi:[0,1]
	s_mov_b32 s34, s26
	s_mov_b32 s42, s19
	;; [unrolled: 1-line block ×3, first 2 shown]
	v_pk_mul_f32 v[50:51], v[0:1], s[22:23]
	s_mov_b32 s23, 0x3ee437d1
	s_mov_b32 s36, 0xbe8c1d8e
	v_pk_mul_f32 v[48:49], v[46:47], s[34:35]
	s_mov_b32 s38, s15
	s_mov_b32 s39, s25
	v_pk_mul_f32 v[52:53], v[40:41], s[42:43] op_sel:[1,0]
	s_mov_b32 s34, s28
	s_mov_b32 s40, s36
	;; [unrolled: 1-line block ×3, first 2 shown]
	v_pk_mul_f32 v[54:55], v[40:41], s[34:35] op_sel_hi:[0,1]
	v_pk_fma_f32 v[56:57], v[0:1], s[38:39], v[52:53] op_sel:[1,0,0] neg_lo:[0,0,1] neg_hi:[0,0,1]
	s_mov_b32 s13, 0xbeb8f4ab
	s_mov_b32 s20, 0xbf7ee86f
	s_waitcnt vmcnt(0)
	v_pk_add_f32 v[56:57], v[56:57], v[6:7] op_sel_hi:[1,0]
	v_pk_fma_f32 v[58:59], v[0:1], s[40:41], v[54:55] op_sel_hi:[0,1,1] neg_lo:[0,0,1] neg_hi:[0,0,1]
	s_mov_b32 s4, 0x3f6eb680
	v_pk_add_f32 v[56:57], v[58:59], v[56:57]
	v_pk_add_f32 v[58:59], v[16:17], v[26:27] neg_lo:[0,1] neg_hi:[0,1]
	s_mov_b32 s50, s13
	s_mov_b32 s51, s20
	;; [unrolled: 1-line block ×3, first 2 shown]
	v_pk_add_f32 v[42:43], v[32:33], v[34:35]
	s_mov_b32 s44, s4
	s_mov_b32 s45, s22
	v_pk_mul_f32 v[74:75], v[58:59], s[50:51] op_sel:[1,0]
	s_mov_b32 s29, s74
	v_pk_fma_f32 v[60:61], v[42:43], s[44:45], v[74:75] op_sel:[1,0,0] neg_lo:[0,0,1] neg_hi:[0,0,1]
	v_pk_mul_f32 v[62:63], v[58:59], s[28:29]
	s_mov_b32 s29, 0x3f2c7751
	v_pk_add_f32 v[64:65], v[60:61], v[56:57]
	s_mov_b32 s12, s29
	v_pk_add_f32 v[56:57], v[14:15], v[18:19] neg_lo:[0,1] neg_hi:[0,1]
	s_mov_b32 s56, s31
	v_pk_mul_f32 v[60:61], v[56:57], s[12:13]
	s_mov_b32 s12, 0x3f4c4adb
	s_mov_b32 s57, s12
	;; [unrolled: 1-line block ×4, first 2 shown]
	v_pk_mul_f32 v[76:77], v[58:59], s[56:57] op_sel_hi:[0,1]
	s_mov_b32 s69, 0x3f7ee86f
	v_pk_fma_f32 v[66:67], v[42:43], s[46:47], v[76:77] op_sel_hi:[0,1,1] neg_lo:[0,0,1] neg_hi:[0,0,1]
	s_mov_b32 s58, s69
	s_mov_b32 s59, s13
	v_pk_add_f32 v[66:67], v[66:67], v[64:65]
	s_mov_b32 s48, s22
	s_mov_b32 s49, s4
	v_pk_add_f32 v[64:65], v[28:29], v[30:31]
	v_pk_mul_f32 v[78:79], v[56:57], s[58:59] op_sel_hi:[0,1]
	v_pk_fma_f32 v[72:73], v[64:65], s[48:49], v[78:79] op_sel_hi:[0,1,1] neg_lo:[0,0,1] neg_hi:[0,0,1]
	s_mov_b32 s0, s11
	s_mov_b32 s1, s4
	v_pk_add_f32 v[66:67], v[72:73], v[66:67]
	s_mov_b32 s70, 0xbe3c28d5
	s_mov_b32 s62, 0xbf2c7751
	;; [unrolled: 1-line block ×3, first 2 shown]
	v_pk_mul_f32 v[72:73], v[0:1], s[0:1]
	v_pk_mul_f32 v[80:81], v[40:41], s[62:63]
	v_pk_fma_f32 v[82:83], v[40:41], s[62:63], v[72:73] neg_lo:[1,0,0] neg_hi:[1,0,0]
	v_pk_fma_f32 v[84:85], v[40:41], s[62:63], v[72:73]
	s_mov_b32 s63, s70
	s_mov_b32 s52, s11
	;; [unrolled: 1-line block ×3, first 2 shown]
	v_pk_mul_f32 v[88:89], v[56:57], s[62:63] op_sel:[1,0]
	s_mov_b32 s64, s70
	v_pk_fma_f32 v[90:91], v[64:65], s[52:53], v[88:89] op_sel:[1,0,0] neg_lo:[0,0,1] neg_hi:[0,0,1]
	s_mov_b32 s65, s29
	v_pk_add_f32 v[66:67], v[90:91], v[66:67]
	s_mov_b32 s54, s14
	s_mov_b32 s55, s11
	v_pk_add_f32 v[90:91], v[22:23], v[24:25]
	v_pk_mul_f32 v[92:93], v[46:47], s[64:65] op_sel:[1,0]
	s_mov_b32 s21, s62
	v_pk_fma_f32 v[94:95], v[90:91], s[54:55], v[92:93] op_sel:[1,0,0] neg_lo:[0,0,1] neg_hi:[0,0,1]
	s_mov_b32 s66, s35
	v_pk_add_f32 v[94:95], v[94:95], v[66:67]
	v_pk_fma_f32 v[66:67], v[40:41], s[20:21], v[50:51] neg_lo:[1,0,0] neg_hi:[1,0,0]
	v_pk_fma_f32 v[50:51], v[40:41], s[20:21], v[50:51]
	s_mov_b32 s21, s27
	v_pk_mul_f32 v[96:97], v[58:59], s[20:21]
	s_mov_b32 s21, 0xbf763a35
	s_mov_b32 s67, s21
	;; [unrolled: 1-line block ×4, first 2 shown]
	v_pk_mul_f32 v[98:99], v[46:47], s[66:67] op_sel_hi:[0,1]
	v_pk_fma_f32 v[100:101], v[90:91], s[60:61], v[98:99] op_sel_hi:[0,1,1] neg_lo:[0,0,1] neg_hi:[0,0,1]
	s_movk_i32 s5, 0x44
	v_pk_add_f32 v[94:95], v[100:101], v[94:95]
	v_mad_u32_u24 v72, v68, s5, 0
	ds_write2_b32 v72, v95, v94 offset0:10 offset1:11
	s_mov_b32 s71, s19
	v_pk_mul_f32 v[94:95], v[42:43], s[14:15]
	s_mov_b32 s72, s22
	v_pk_fma_f32 v[100:101], v[58:59], s[70:71], v[94:95] neg_lo:[1,0,0] neg_hi:[1,0,0]
	v_pk_fma_f32 v[94:95], v[58:59], s[70:71], v[94:95]
	s_mov_b32 s71, 0x3f06c442
	s_mov_b32 s73, s36
	v_pk_mul_f32 v[102:103], v[40:41], s[20:21] op_sel:[1,0]
	s_mov_b32 s24, s14
	v_pk_fma_f32 v[104:105], v[0:1], s[72:73], v[102:103] op_sel:[1,0,0] neg_lo:[0,0,1] neg_hi:[0,0,1]
	v_pk_mul_f32 v[106:107], v[40:41], s[70:71] op_sel_hi:[0,1]
	v_pk_add_f32 v[104:105], v[104:105], v[6:7] op_sel_hi:[1,0]
	v_pk_fma_f32 v[108:109], v[0:1], s[24:25], v[106:107] op_sel_hi:[0,1,1] neg_lo:[0,0,1] neg_hi:[0,0,1]
	v_pk_add_f32 v[104:105], v[108:109], v[104:105]
	s_mov_b32 s10, s36
	v_pk_mul_f32 v[108:109], v[58:59], s[28:29] op_sel:[1,0]
	s_mov_b32 s5, s23
	v_pk_fma_f32 v[110:111], v[42:43], s[10:11], v[108:109] op_sel:[1,0,0] neg_lo:[0,0,1] neg_hi:[0,0,1]
	s_mov_b32 s84, s27
	v_pk_add_f32 v[104:105], v[110:111], v[104:105]
	v_pk_mul_f32 v[110:111], v[58:59], s[26:27] op_sel_hi:[0,1]
	v_pk_fma_f32 v[112:113], v[42:43], s[4:5], v[110:111] op_sel_hi:[0,1,1] neg_lo:[0,0,1] neg_hi:[0,0,1]
	s_mov_b32 s85, s70
	v_add_f32_e32 v51, v51, v6
	s_mov_b32 s86, s15
	s_mov_b32 s87, s23
	v_pk_add_f32 v[104:105], v[112:113], v[104:105]
	s_mov_b32 s76, s23
	s_mov_b32 s77, s14
	v_pk_mul_f32 v[112:113], v[56:57], s[84:85] op_sel_hi:[0,1]
	v_add_f32_e32 v80, v50, v51
	v_pk_fma_f32 v[50:51], v[0:1], s[86:87], v[44:45]
	v_pk_fma_f32 v[114:115], v[64:65], s[76:77], v[112:113] op_sel_hi:[0,1,1] neg_lo:[0,0,1] neg_hi:[0,0,1]
	s_mov_b32 s68, s31
	v_add_f32_e32 v71, v83, v6
	v_add_f32_e32 v51, v51, v6
	v_pk_add_f32 v[104:105], v[114:115], v[104:105]
	s_mov_b32 s80, s25
	s_mov_b32 s81, s22
	v_pk_mul_f32 v[114:115], v[56:57], s[68:69] op_sel:[1,0]
	v_add_f32_e32 v71, v82, v71
	v_add_f32_e32 v82, v50, v51
	v_pk_fma_f32 v[50:51], v[42:43], s[22:23], v[96:97] neg_lo:[0,0,1] neg_hi:[0,0,1]
	v_pk_fma_f32 v[116:117], v[64:65], s[80:81], v[114:115] op_sel:[1,0,0] neg_lo:[0,0,1] neg_hi:[0,0,1]
	v_add_f32_e32 v51, v51, v71
	v_pk_add_f32 v[104:105], v[116:117], v[104:105]
	s_mov_b32 s78, s15
	s_mov_b32 s79, s4
	v_pk_mul_f32 v[116:117], v[46:47], s[12:13] op_sel:[1,0]
	v_add_f32_e32 v71, v50, v51
	v_add_f32_e32 v50, v95, v80
	s_mov_b32 s37, s14
	v_pk_fma_f32 v[118:119], v[90:91], s[78:79], v[116:117] op_sel:[1,0,0] neg_lo:[0,0,1] neg_hi:[0,0,1]
	s_mov_b32 s18, s21
	v_add_f32_e32 v87, v94, v50
	v_pk_fma_f32 v[50:51], v[42:43], s[36:37], v[62:63]
	v_pk_add_f32 v[104:105], v[118:119], v[104:105]
	v_pk_mul_f32 v[118:119], v[56:57], s[18:19]
	v_add_f32_e32 v51, v51, v82
	s_mov_b32 s88, s36
	s_mov_b32 s89, s15
	v_add_f32_e32 v80, v50, v51
	v_pk_fma_f32 v[50:51], v[64:65], s[88:89], v[118:119] neg_lo:[0,0,1] neg_hi:[0,0,1]
	s_mov_b32 s18, s29
	v_add_f32_e32 v50, v50, v71
	v_add_f32_e32 v85, v51, v50
	v_pk_fma_f32 v[50:51], v[64:65], s[0:1], v[60:61]
	s_mov_b32 s82, s11
	v_add_f32_e32 v50, v50, v80
	s_mov_b32 s83, s15
	v_pk_mul_f32 v[120:121], v[46:47], s[18:19] op_sel_hi:[0,1]
	v_add_f32_e32 v126, v51, v50
	v_mov_b32_e32 v50, v47
	v_mov_b32_e32 v51, v91
	s_mov_b32 s90, s20
	s_mov_b32 s91, s22
	v_pk_fma_f32 v[122:123], v[90:91], s[82:83], v[120:121] op_sel_hi:[0,1,1] neg_lo:[0,0,1] neg_hi:[0,0,1]
	v_pk_mul_f32 v[82:83], v[50:51], s[90:91]
	s_mov_b32 s30, s70
	v_pk_add_f32 v[104:105], v[122:123], v[104:105]
	v_mov_b32_e32 v71, v82
	v_mov_b32_e32 v80, v83
	v_pk_mul_f32 v[82:83], v[46:47], s[30:31]
	ds_write2_b32 v72, v105, v104 offset0:12 offset1:13
	v_pk_fma_f32 v[94:95], v[50:51], s[90:91], v[70:71]
	v_pk_fma_f32 v[50:51], v[50:51], s[90:91], v[80:81] neg_lo:[1,0,0] neg_hi:[1,0,0]
	v_pk_fma_f32 v[104:105], v[90:91], s[24:25], v[82:83] neg_lo:[0,0,1] neg_hi:[0,0,1]
	s_mov_b32 s30, s25
	v_add_f32_e32 v51, v105, v85
	v_add_f32_e32 v71, v104, v51
	;; [unrolled: 1-line block ×5, first 2 shown]
	v_mov_b32_e32 v104, v90
	v_mov_b32_e32 v105, v46
	v_add_f32_e32 v51, v32, v51
	v_pk_mul_f32 v[122:123], v[104:105], s[30:31]
	v_add_f32_e32 v51, v28, v51
	v_mov_b32_e32 v80, v123
	v_add_f32_e32 v51, v29, v51
	v_pk_fma_f32 v[104:105], v[104:105], s[30:31], v[80:81] neg_lo:[0,0,1] neg_hi:[0,0,1]
	v_mov_b32_e32 v125, v73
	v_add_f32_e32 v124, v23, v51
	v_mov_b32_e32 v80, v22
	v_pk_add_f32 v[80:81], v[80:81], v[124:125]
	v_mov_b32_e32 v124, v24
	v_mov_b32_e32 v125, v6
	v_pk_add_f32 v[80:81], v[124:125], v[80:81]
	v_mov_b32_e32 v85, v84
	v_mov_b32_e32 v84, v25
	v_pk_add_f32 v[80:81], v[84:85], v[80:81]
	v_pk_fma_f32 v[84:85], v[42:43], s[22:23], v[96:97]
	v_mov_b32_e32 v96, v31
	v_mov_b32_e32 v97, v85
	v_pk_add_f32 v[80:81], v[96:97], v[80:81]
	v_mov_b32_e32 v85, v84
	v_mov_b32_e32 v84, v30
	v_pk_add_f32 v[80:81], v[84:85], v[80:81]
	v_pk_fma_f32 v[84:85], v[64:65], s[88:89], v[118:119]
	v_mov_b32_e32 v96, v34
	v_mov_b32_e32 v97, v84
	v_pk_add_f32 v[80:81], v[96:97], v[80:81]
	v_mov_b32_e32 v84, v35
	v_pk_fma_f32 v[82:83], v[90:91], s[24:25], v[82:83]
	v_pk_add_f32 v[80:81], v[84:85], v[80:81]
	v_mov_b32_e32 v84, v38
	v_mov_b32_e32 v85, v83
	v_pk_add_f32 v[80:81], v[84:85], v[80:81]
	v_mov_b32_e32 v83, v82
	v_mov_b32_e32 v82, v39
	v_pk_add_f32 v[80:81], v[82:83], v[80:81]
	v_pk_mul_f32 v[84:85], v[90:91], s[4:5]
	ds_write2_b32 v72, v80, v81 offset1:1
	v_pk_fma_f32 v[80:81], v[90:91], s[4:5], v[48:49]
	v_pk_fma_f32 v[82:83], v[90:91], s[4:5], v[48:49] neg_lo:[0,0,1] neg_hi:[0,0,1]
	v_mov_b32_e32 v49, v95
	v_mov_b32_e32 v85, v126
	s_mov_b32 s88, s25
	s_mov_b32 s89, s36
	v_pk_add_f32 v[48:49], v[48:49], v[84:85]
	s_mov_b32 s90, s71
	s_mov_b32 s91, s28
	v_pk_mul_f32 v[84:85], v[64:65], s[88:89]
	v_pk_fma_f32 v[44:45], v[0:1], s[86:87], v[44:45] neg_lo:[0,0,1] neg_hi:[0,0,1]
	v_pk_fma_f32 v[94:95], v[56:57], s[90:91], v[84:85]
	v_mul_f32_e32 v40, 0x3eb8f4ab, v40
	v_add_f32_e32 v51, v94, v87
	v_add_f32_e32 v80, v95, v51
	v_mov_b32_e32 v94, v81
	v_mov_b32_e32 v95, v123
	;; [unrolled: 1-line block ×3, first 2 shown]
	v_pk_add_f32 v[80:81], v[94:95], v[80:81]
	v_mul_f32_e32 v46, 0x3f7ee86f, v46
	v_pk_add_f32 v[48:49], v[80:81], v[48:49]
	ds_write2_b32 v72, v48, v49 offset0:2 offset1:3
	v_pk_fma_f32 v[48:49], v[0:1], s[72:73], v[102:103] op_sel:[1,0,0]
	v_pk_fma_f32 v[80:81], v[0:1], s[24:25], v[106:107] op_sel_hi:[0,1,1]
	v_pk_add_f32 v[48:49], v[48:49], v[6:7] op_sel_hi:[1,0]
	v_mov_b32_e32 v51, v83
	v_pk_add_f32 v[48:49], v[80:81], v[48:49]
	v_pk_fma_f32 v[80:81], v[42:43], s[10:11], v[108:109] op_sel:[1,0,0]
	v_mov_b32_e32 v105, v82
	v_pk_add_f32 v[48:49], v[80:81], v[48:49]
	v_pk_fma_f32 v[80:81], v[42:43], s[4:5], v[110:111] op_sel_hi:[0,1,1]
	v_pk_add_f32 v[48:49], v[80:81], v[48:49]
	v_pk_fma_f32 v[80:81], v[64:65], s[76:77], v[112:113] op_sel_hi:[0,1,1]
	v_pk_add_f32 v[48:49], v[80:81], v[48:49]
	v_pk_fma_f32 v[80:81], v[64:65], s[80:81], v[114:115] op_sel:[1,0,0]
	s_load_dwordx2 s[2:3], s[2:3], 0x0
	v_pk_add_f32 v[48:49], v[80:81], v[48:49]
	v_pk_fma_f32 v[80:81], v[90:91], s[78:79], v[116:117] op_sel:[1,0,0]
                                        ; implicit-def: $vgpr73
	s_nop 0
	v_pk_add_f32 v[48:49], v[80:81], v[48:49]
	v_pk_fma_f32 v[80:81], v[90:91], s[82:83], v[120:121] op_sel_hi:[0,1,1]
	v_pk_add_f32 v[48:49], v[80:81], v[48:49]
	ds_write2_b32 v72, v48, v49 offset0:4 offset1:5
	v_pk_fma_f32 v[48:49], v[0:1], s[38:39], v[52:53] op_sel:[1,0,0]
	v_pk_fma_f32 v[52:53], v[0:1], s[40:41], v[54:55] op_sel_hi:[0,1,1]
	v_pk_add_f32 v[48:49], v[48:49], v[6:7] op_sel_hi:[1,0]
	v_mul_f32_e32 v0, 0x3f6eb680, v0
	v_pk_add_f32 v[48:49], v[52:53], v[48:49]
	v_pk_fma_f32 v[52:53], v[42:43], s[44:45], v[74:75] op_sel:[1,0,0]
                                        ; implicit-def: $vgpr75
                                        ; implicit-def: $vgpr74
	s_nop 0
	v_pk_add_f32 v[48:49], v[52:53], v[48:49]
	v_pk_fma_f32 v[52:53], v[42:43], s[46:47], v[76:77] op_sel_hi:[0,1,1]
	v_pk_add_f32 v[48:49], v[52:53], v[48:49]
	v_pk_fma_f32 v[52:53], v[64:65], s[48:49], v[78:79] op_sel_hi:[0,1,1]
	v_pk_add_f32 v[48:49], v[52:53], v[48:49]
	v_pk_fma_f32 v[52:53], v[64:65], s[52:53], v[88:89] op_sel:[1,0,0]
                                        ; implicit-def: $vgpr76
	s_nop 0
	v_pk_add_f32 v[48:49], v[52:53], v[48:49]
	v_pk_fma_f32 v[52:53], v[90:91], s[54:55], v[92:93] op_sel:[1,0,0]
	s_nop 0
	v_pk_add_f32 v[48:49], v[52:53], v[48:49]
	v_pk_fma_f32 v[52:53], v[90:91], s[60:61], v[98:99] op_sel_hi:[0,1,1]
	v_pk_add_f32 v[48:49], v[52:53], v[48:49]
	ds_write2_b32 v72, v48, v49 offset0:6 offset1:7
	v_mul_f32_e32 v48, 0xbf7ba420, v1
	v_mul_f32_e32 v52, 0xbe3c28d5, v41
	v_pk_add_f32 v[54:55], v[48:49], v[52:53]
	v_pk_add_f32 v[48:49], v[48:49], v[52:53] neg_lo:[0,1] neg_hi:[0,1]
	s_nop 0
	v_mov_b32_e32 v55, v48
	v_pk_add_f32 v[48:49], v[0:1], v[40:41]
	v_pk_add_f32 v[0:1], v[0:1], v[40:41] neg_lo:[0,1] neg_hi:[0,1]
	v_mul_f32_e32 v40, 0xbf59a7d5, v43
	v_mov_b32_e32 v49, v0
	v_pk_add_f32 v[0:1], v[54:55], v[6:7] op_sel_hi:[1,0]
	v_mul_f32_e32 v54, 0x3f65296c, v57
	v_pk_add_f32 v[0:1], v[48:49], v[0:1]
	v_mul_f32_e32 v48, 0xbf06c442, v59
	v_pk_add_f32 v[52:53], v[40:41], v[48:49]
	v_pk_add_f32 v[40:41], v[40:41], v[48:49] neg_lo:[0,1] neg_hi:[0,1]
	v_mul_f32_e32 v48, 0x3f2c7751, v58
	v_mov_b32_e32 v53, v40
	v_pk_fma_f32 v[40:41], v[42:43], s[36:37], v[62:63] neg_lo:[0,0,1] neg_hi:[0,0,1]
	v_mul_f32_e32 v42, 0x3f3d2fb0, v42
	v_pk_add_f32 v[0:1], v[52:53], v[0:1]
	v_pk_add_f32 v[52:53], v[42:43], v[48:49]
	v_pk_add_f32 v[42:43], v[42:43], v[48:49] neg_lo:[0,1] neg_hi:[0,1]
	v_mul_f32_e32 v48, 0xbf4c4adb, v56
	v_mov_b32_e32 v53, v42
	v_mul_f32_e32 v42, 0xbf1a4643, v64
	v_pk_add_f32 v[0:1], v[52:53], v[0:1]
	v_pk_add_f32 v[52:53], v[42:43], v[48:49]
	v_pk_add_f32 v[42:43], v[42:43], v[48:49] neg_lo:[0,1] neg_hi:[0,1]
	v_pk_fma_f32 v[48:49], v[64:65], s[0:1], v[60:61] neg_lo:[0,0,1] neg_hi:[0,0,1]
	v_mov_b32_e32 v53, v42
	v_pk_add_f32 v[0:1], v[52:53], v[0:1]
	v_mul_f32_e32 v52, 0x3ee437d1, v65
	v_pk_fma_f32 v[42:43], v[56:57], s[90:91], v[84:85] neg_lo:[1,0,0] neg_hi:[1,0,0]
	v_pk_add_f32 v[56:57], v[52:53], v[54:55]
	v_pk_add_f32 v[52:53], v[52:53], v[54:55] neg_lo:[0,1] neg_hi:[0,1]
	v_mul_f32_e32 v54, 0xbf763a35, v47
	v_mov_b32_e32 v57, v52
	v_mul_f32_e32 v52, 0xbe8c1d8e, v91
	v_pk_add_f32 v[0:1], v[56:57], v[0:1]
	v_pk_add_f32 v[56:57], v[52:53], v[54:55]
	v_pk_add_f32 v[52:53], v[52:53], v[54:55] neg_lo:[0,1] neg_hi:[0,1]
	v_lshl_add_u32 v59, v69, 2, 0
	v_mov_b32_e32 v57, v52
	v_mul_f32_e32 v52, 0x3dbcf732, v90
	v_pk_add_f32 v[54:55], v[52:53], v[46:47]
	v_pk_add_f32 v[46:47], v[52:53], v[46:47] neg_lo:[0,1] neg_hi:[0,1]
	v_pk_add_f32 v[0:1], v[56:57], v[0:1]
	v_mov_b32_e32 v55, v46
	v_pk_add_f32 v[0:1], v[54:55], v[0:1]
	ds_write2_b32 v72, v0, v1 offset0:8 offset1:9
	v_mov_b32_e32 v0, v45
	v_mov_b32_e32 v1, v67
	v_pk_add_f32 v[0:1], v[0:1], v[6:7] op_sel_hi:[1,0]
	v_mov_b32_e32 v45, v66
	v_pk_add_f32 v[0:1], v[44:45], v[0:1]
	v_mov_b32_e32 v44, v41
	v_mov_b32_e32 v45, v101
	v_pk_add_f32 v[0:1], v[44:45], v[0:1]
	v_mov_b32_e32 v41, v100
	v_pk_add_f32 v[0:1], v[40:41], v[0:1]
	v_mov_b32_e32 v40, v48
	v_mov_b32_e32 v41, v42
	v_pk_add_f32 v[0:1], v[40:41], v[0:1]
	v_mov_b32_e32 v42, v49
	v_pk_add_f32 v[0:1], v[42:43], v[0:1]
	v_lshlrev_b32_e32 v40, 6, v68
	v_pk_add_f32 v[0:1], v[50:51], v[0:1]
	v_sub_u32_e32 v53, v72, v40
	v_pk_add_f32 v[0:1], v[104:105], v[0:1]
	v_add_u32_e32 v77, 0x400, v53
	v_add_u32_e32 v78, 0x800, v53
	ds_write2_b32 v72, v0, v1 offset0:14 offset1:15
	ds_write_b32 v72, v71 offset:64
	s_waitcnt lgkmcnt(0)
	s_barrier
	ds_read2_b32 v[40:41], v77 offset0:33 offset1:152
	ds_read2_b32 v[42:43], v78 offset0:66 offset1:185
	v_add_u32_e32 v79, 0xc00, v53
	v_add_u32_e32 v80, 0x1000, v53
	;; [unrolled: 1-line block ×4, first 2 shown]
	v_lshl_add_u32 v55, v70, 2, 0
	ds_read_b32 v67, v53
	ds_read_b32 v66, v55
	ds_read2_b32 v[48:49], v79 offset0:99 offset1:218
	ds_read2_b32 v[50:51], v80 offset0:132 offset1:251
	;; [unrolled: 1-line block ×4, first 2 shown]
	v_cmp_gt_u32_e64 s[0:1], 51, v68
	s_and_saveexec_b64 s[86:87], s[0:1]
	s_cbranch_execz .LBB0_15
; %bb.14:
	ds_read_b32 v1, v53 offset:2108
	ds_read_b32 v71, v53 offset:3264
	;; [unrolled: 1-line block ×5, first 2 shown]
	ds_read_b32 v0, v59
	ds_read_b32 v73, v53 offset:7888
.LBB0_15:
	s_or_b64 exec, exec, s[86:87]
	v_pk_add_f32 v[62:63], v[36:37], v[38:39] neg_lo:[0,1] neg_hi:[0,1]
	v_mov_b32_e32 v60, v10
	v_mov_b32_e32 v61, v36
	;; [unrolled: 1-line block ×4, first 2 shown]
	v_pk_add_f32 v[56:57], v[60:61], v[36:37]
	v_pk_add_f32 v[64:65], v[60:61], v[36:37] neg_lo:[0,1] neg_hi:[0,1]
	v_mov_b32_e32 v36, v56
	v_mov_b32_e32 v37, v65
	s_mov_b32 s86, s11
	s_mov_b32 s87, s62
	v_pk_mul_f32 v[38:39], v[36:37], s[86:87]
	v_mov_b32_e32 v92, v17
	v_mov_b32_e32 v61, v38
	;; [unrolled: 1-line block ×5, first 2 shown]
	v_pk_fma_f32 v[90:91], v[36:37], s[86:87], v[60:61] neg_lo:[1,0,0] neg_hi:[1,0,0]
	v_pk_add_f32 v[60:61], v[92:93], v[94:95]
	v_pk_add_f32 v[92:93], v[92:93], v[94:95] neg_lo:[0,1] neg_hi:[0,1]
	v_add_f32_e32 v52, v11, v7
	v_mov_b32_e32 v94, v60
	v_mov_b32_e32 v95, v93
	s_mov_b32 s86, s23
	s_mov_b32 s87, s27
	v_add_f32_e32 v52, v10, v52
	v_pk_mul_f32 v[96:97], v[94:95], s[86:87]
	v_add_f32_e32 v52, v17, v52
	v_mov_b32_e32 v17, v96
	v_pk_fma_f32 v[94:95], v[94:95], s[86:87], v[16:17] neg_lo:[1,0,0] neg_hi:[1,0,0]
	v_mov_b32_e32 v17, v32
	v_mov_b32_e32 v32, v26
	;; [unrolled: 1-line block ×3, first 2 shown]
	v_add_f32_e32 v37, v38, v39
	v_add_f32_e32 v39, v96, v97
	v_pk_add_f32 v[96:97], v[16:17], v[32:33]
	v_pk_add_f32 v[98:99], v[16:17], v[32:33] neg_lo:[0,1] neg_hi:[0,1]
	v_add_f32_e32 v52, v16, v52
	v_mov_b32_e32 v16, v96
	v_mov_b32_e32 v17, v99
	s_mov_b32 s86, s22
	s_mov_b32 s87, s20
	v_pk_mul_f32 v[32:33], v[16:17], s[86:87]
	v_mov_b32_e32 v100, v18
	v_mov_b32_e32 v35, v32
	v_pk_fma_f32 v[16:17], v[16:17], s[86:87], v[34:35] neg_lo:[1,0,0] neg_hi:[1,0,0]
	v_mov_b32_e32 v34, v14
	v_mov_b32_e32 v35, v28
	;; [unrolled: 1-line block ×3, first 2 shown]
	v_add_f32_e32 v84, v14, v52
	v_pk_add_f32 v[102:103], v[34:35], v[100:101]
	v_pk_add_f32 v[100:101], v[34:35], v[100:101] neg_lo:[0,1] neg_hi:[0,1]
	v_mov_b32_e32 v10, v15
	v_mov_b32_e32 v85, v21
	v_mov_b32_e32 v34, v102
	v_mov_b32_e32 v35, v101
	s_mov_b32 s86, s36
	s_mov_b32 s87, s21
	v_pk_add_f32 v[10:11], v[10:11], v[84:85]
	v_mov_b32_e32 v85, 0x3f6eb680
	v_mov_b32_e32 v84, v9
	v_pk_mul_f32 v[104:105], v[34:35], s[86:87]
	v_pk_mul_f32 v[122:123], v[84:85], v[10:11]
	v_add_f32_e32 v83, v32, v33
	v_mul_f32_e32 v32, 0x3f2c7751, v99
	v_mov_b32_e32 v33, v104
	v_mov_b32_e32 v28, v15
	;; [unrolled: 1-line block ×3, first 2 shown]
	v_pk_add_f32 v[120:121], v[84:85], v[10:11]
	v_fmac_f32_e32 v123, 0xbeb8f4ab, v63
	v_pk_fma_f32 v[106:107], v[34:35], s[86:87], v[32:33] neg_lo:[1,0,0] neg_hi:[1,0,0]
	v_add_f32_e32 v35, v104, v105
	v_pk_add_f32 v[104:105], v[28:29], v[30:31]
	v_pk_add_f32 v[28:29], v[28:29], v[30:31] neg_lo:[0,1] neg_hi:[0,1]
	v_mov_b32_e32 v112, v9
	v_pk_add_f32 v[120:121], v[120:121], v[8:9]
	v_add_f32_e32 v9, v123, v7
	v_mov_b32_e32 v30, v104
	v_mov_b32_e32 v31, v29
	s_mov_b32 s86, s15
	s_mov_b32 s87, s19
	v_mov_b32_e32 v113, v23
	v_mov_b32_e32 v114, v13
	;; [unrolled: 1-line block ×3, first 2 shown]
	v_add_f32_e32 v9, v37, v9
	v_pk_mul_f32 v[108:109], v[30:31], s[86:87]
	v_pk_add_f32 v[116:117], v[112:113], v[114:115]
	v_pk_add_f32 v[112:113], v[112:113], v[114:115] neg_lo:[0,1] neg_hi:[0,1]
	v_add_f32_e32 v9, v39, v9
	v_mul_f32_e32 v89, 0xbeb8f4ab, v63
	v_mov_b32_e32 v33, v108
	v_mov_b32_e32 v114, v116
	;; [unrolled: 1-line block ×4, first 2 shown]
	v_add_f32_e32 v9, v83, v9
	v_pk_fma_f32 v[30:31], v[30:31], s[86:87], v[32:33] neg_lo:[1,0,0] neg_hi:[1,0,0]
	v_add_f32_e32 v33, v108, v109
	v_pk_mul_f32 v[118:119], v[114:115], s[30:31]
	v_pk_fma_f32 v[84:85], v[84:85], v[10:11], v[88:89] neg_lo:[0,0,1] neg_hi:[0,0,1]
	v_add_f32_e32 v9, v35, v9
	v_mov_b32_e32 v121, v85
	v_mov_b32_e32 v84, v12
	;; [unrolled: 1-line block ×4, first 2 shown]
	v_add_f32_e32 v9, v33, v9
	v_add_f32_e32 v13, v118, v119
	v_mov_b32_e32 v23, v118
	v_pk_add_f32 v[84:85], v[84:85], v[120:121]
	v_mov_b32_e32 v94, v19
	v_mov_b32_e32 v19, v17
	v_add_f32_e32 v17, v13, v9
	v_mov_b32_e32 v9, v22
	v_mov_b32_e32 v13, v24
	v_pk_fma_f32 v[114:115], v[114:115], s[30:31], v[22:23] neg_lo:[1,0,0] neg_hi:[1,0,0]
	v_pk_add_f32 v[84:85], v[90:91], v[84:85]
	v_pk_add_f32 v[22:23], v[8:9], v[12:13]
	v_pk_add_f32 v[12:13], v[8:9], v[12:13] neg_lo:[0,1] neg_hi:[0,1]
	v_pk_add_f32 v[84:85], v[94:95], v[84:85]
	v_mov_b32_e32 v8, v22
	v_mov_b32_e32 v9, v13
	s_mov_b32 s86, s14
	s_mov_b32 s87, s70
	v_pk_add_f32 v[18:19], v[18:19], v[84:85]
	v_mov_b32_e32 v106, v26
	v_pk_mul_f32 v[24:25], v[8:9], s[86:87]
	v_mul_f32_e32 v14, 0xbf1a4643, v102
	v_pk_add_f32 v[18:19], v[106:107], v[18:19]
	v_mov_b32_e32 v30, v27
	v_mov_b32_e32 v15, v24
	v_pk_add_f32 v[18:19], v[30:31], v[18:19]
	v_mov_b32_e32 v114, v20
	v_pk_fma_f32 v[8:9], v[8:9], s[86:87], v[14:15] neg_lo:[1,0,0] neg_hi:[1,0,0]
	v_pk_add_f32 v[18:19], v[114:115], v[18:19]
	v_mov_b32_e32 v8, v21
	v_pk_add_f32 v[18:19], v[8:9], v[18:19]
	v_add_f32_e32 v8, v24, v25
	s_mov_b32 s88, s27
	s_mov_b32 s89, s62
	v_add_f32_e32 v21, v8, v17
	s_mov_b32 s86, s23
	s_mov_b32 s87, s11
	v_pk_mul_f32 v[8:9], v[62:63], s[88:89] op_sel:[1,0]
	s_mov_b32 s90, s19
	s_mov_b32 s91, s20
	v_pk_fma_f32 v[24:25], v[10:11], s[86:87], v[8:9] op_sel:[1,0,0]
	s_mov_b32 s88, s15
	s_mov_b32 s89, s22
	v_pk_mul_f32 v[84:85], v[64:65], s[90:91] op_sel:[1,0]
	v_pk_add_f32 v[24:25], v[24:25], v[6:7] op_sel:[0,1]
	v_pk_fma_f32 v[88:89], v[56:57], s[88:89], v[84:85] op_sel_hi:[0,1,1]
	s_mov_b32 s75, s19
	v_pk_add_f32 v[24:25], v[88:89], v[24:25]
	v_pk_mul_f32 v[88:89], v[92:93], s[74:75] op_sel:[1,0]
	s_mov_b32 s74, s28
	v_pk_fma_f32 v[90:91], v[60:61], s[14:15], v[88:89] op_sel_hi:[0,1,1]
	s_mov_b32 s75, s70
	v_pk_add_f32 v[24:25], v[90:91], v[24:25]
	v_pk_mul_f32 v[90:91], v[98:99], s[74:75] op_sel:[1,0]
	s_mov_b32 s90, s29
	v_pk_fma_f32 v[94:95], v[96:97], s[36:37], v[90:91] op_sel_hi:[0,1,1]
	s_mov_b32 s91, s71
	v_pk_add_f32 v[24:25], v[94:95], v[24:25]
	s_mov_b32 s74, s11
	s_mov_b32 s75, s25
	v_pk_mul_f32 v[94:95], v[100:101], s[90:91] op_sel:[1,0]
	v_pk_fma_f32 v[8:9], v[10:11], s[86:87], v[8:9] op_sel:[1,0,0] neg_lo:[0,0,1] neg_hi:[0,0,1]
	v_pk_fma_f32 v[106:107], v[102:103], s[74:75], v[94:95] op_sel_hi:[0,1,1]
	s_mov_b32 s92, s13
	s_mov_b32 s93, s28
	v_pk_add_f32 v[8:9], v[8:9], v[6:7] op_sel:[0,1]
	v_pk_fma_f32 v[84:85], v[56:57], s[88:89], v[84:85] op_sel_hi:[0,1,1] neg_lo:[0,0,1] neg_hi:[0,0,1]
	v_pk_add_f32 v[24:25], v[106:107], v[24:25]
	s_mov_b32 s90, s4
	s_mov_b32 s91, s36
	v_pk_mul_f32 v[106:107], v[28:29], s[92:93] op_sel:[1,0]
	v_pk_add_f32 v[8:9], v[84:85], v[8:9]
	v_pk_fma_f32 v[84:85], v[60:61], s[14:15], v[88:89] op_sel_hi:[0,1,1] neg_lo:[0,0,1] neg_hi:[0,0,1]
	v_pk_fma_f32 v[114:115], v[104:105], s[90:91], v[106:107] op_sel_hi:[0,1,1]
	s_mov_b32 s92, s20
	s_mov_b32 s93, s35
	v_pk_add_f32 v[8:9], v[84:85], v[8:9]
	v_pk_fma_f32 v[84:85], v[96:97], s[36:37], v[90:91] op_sel_hi:[0,1,1] neg_lo:[0,0,1] neg_hi:[0,0,1]
	v_pk_add_f32 v[24:25], v[114:115], v[24:25]
	v_pk_mul_f32 v[114:115], v[112:113], s[92:93] op_sel:[1,0]
	v_pk_add_f32 v[8:9], v[84:85], v[8:9]
	v_pk_fma_f32 v[84:85], v[102:103], s[74:75], v[94:95] op_sel_hi:[0,1,1] neg_lo:[0,0,1] neg_hi:[0,0,1]
	v_pk_fma_f32 v[118:119], v[116:117], s[22:23], v[114:115] op_sel_hi:[0,1,1]
	s_mov_b32 s30, s31
	s_mov_b32 s31, s26
	v_pk_add_f32 v[8:9], v[84:85], v[8:9]
	v_pk_fma_f32 v[84:85], v[104:105], s[90:91], v[106:107] op_sel_hi:[0,1,1] neg_lo:[0,0,1] neg_hi:[0,0,1]
	v_pk_add_f32 v[24:25], v[118:119], v[24:25]
	s_mov_b32 s92, s25
	s_mov_b32 s93, s4
	v_pk_mul_f32 v[118:119], v[12:13], s[30:31] op_sel:[1,0]
	v_pk_add_f32 v[8:9], v[84:85], v[8:9]
	v_pk_fma_f32 v[84:85], v[116:117], s[22:23], v[114:115] op_sel_hi:[0,1,1] neg_lo:[0,0,1] neg_hi:[0,0,1]
	v_pk_fma_f32 v[120:121], v[22:23], s[92:93], v[118:119] op_sel_hi:[0,1,1]
	v_pk_add_f32 v[8:9], v[84:85], v[8:9]
	v_pk_fma_f32 v[84:85], v[22:23], s[92:93], v[118:119] op_sel_hi:[0,1,1] neg_lo:[0,0,1] neg_hi:[0,0,1]
	v_pk_add_f32 v[84:85], v[84:85], v[8:9]
	v_pk_add_f32 v[8:9], v[120:121], v[24:25]
	v_pk_mul_f32 v[24:25], v[62:63], s[20:21] op_sel:[1,0]
	v_pk_mul_f32 v[88:89], v[64:65], s[70:71] op_sel:[1,0]
	v_pk_fma_f32 v[128:129], v[10:11], s[72:73], v[24:25] op_sel:[1,0,0] neg_lo:[0,0,1] neg_hi:[0,0,1]
	v_pk_fma_f32 v[90:91], v[56:57], s[24:25], v[88:89] op_sel_hi:[0,1,1] neg_lo:[0,0,1] neg_hi:[0,0,1]
	v_pk_mul_f32 v[94:95], v[92:93], s[28:29] op_sel:[1,0]
	v_pk_add_f32 v[128:129], v[128:129], v[6:7] op_sel:[0,1]
	v_pk_fma_f32 v[106:107], v[60:61], s[10:11], v[94:95] op_sel_hi:[0,1,1] neg_lo:[0,0,1] neg_hi:[0,0,1]
	v_pk_mul_f32 v[114:115], v[98:99], s[26:27] op_sel:[1,0]
	v_pk_add_f32 v[90:91], v[90:91], v[128:129]
	v_pk_fma_f32 v[118:119], v[96:97], s[4:5], v[114:115] op_sel_hi:[0,1,1] neg_lo:[0,0,1] neg_hi:[0,0,1]
	v_pk_mul_f32 v[120:121], v[100:101], s[84:85] op_sel:[1,0]
	v_pk_add_f32 v[90:91], v[106:107], v[90:91]
	;; [unrolled: 3-line block ×3, first 2 shown]
	v_pk_fma_f32 v[24:25], v[10:11], s[72:73], v[24:25] op_sel:[1,0,0]
	v_pk_fma_f32 v[126:127], v[104:105], s[80:81], v[124:125] op_sel_hi:[0,1,1] neg_lo:[0,0,1] neg_hi:[0,0,1]
	v_pk_add_f32 v[90:91], v[122:123], v[90:91]
	v_pk_mul_f32 v[106:107], v[112:113], s[12:13] op_sel:[1,0]
	v_pk_fma_f32 v[88:89], v[56:57], s[24:25], v[88:89] op_sel_hi:[0,1,1]
	v_pk_add_f32 v[24:25], v[24:25], v[6:7] op_sel:[0,1]
	v_pk_add_f32 v[90:91], v[126:127], v[90:91]
	v_pk_fma_f32 v[118:119], v[116:117], s[78:79], v[106:107] op_sel_hi:[0,1,1] neg_lo:[0,0,1] neg_hi:[0,0,1]
	v_pk_fma_f32 v[94:95], v[60:61], s[10:11], v[94:95] op_sel_hi:[0,1,1]
	v_pk_add_f32 v[24:25], v[88:89], v[24:25]
	v_pk_add_f32 v[90:91], v[118:119], v[90:91]
	v_pk_mul_f32 v[118:119], v[12:13], s[18:19] op_sel:[1,0]
	v_pk_fma_f32 v[114:115], v[96:97], s[4:5], v[114:115] op_sel_hi:[0,1,1]
	v_pk_add_f32 v[24:25], v[94:95], v[24:25]
	v_pk_fma_f32 v[122:123], v[22:23], s[82:83], v[118:119] op_sel_hi:[0,1,1] neg_lo:[0,0,1] neg_hi:[0,0,1]
	v_pk_fma_f32 v[120:121], v[102:103], s[76:77], v[120:121] op_sel_hi:[0,1,1]
	v_pk_add_f32 v[24:25], v[114:115], v[24:25]
	v_pk_add_f32 v[90:91], v[122:123], v[90:91]
	v_pk_fma_f32 v[122:123], v[104:105], s[80:81], v[124:125] op_sel_hi:[0,1,1]
	v_pk_add_f32 v[24:25], v[120:121], v[24:25]
	v_mul_f32_e32 v52, 0xbe3c28d5, v63
	v_pk_add_f32 v[24:25], v[122:123], v[24:25]
	v_pk_fma_f32 v[88:89], v[116:117], s[78:79], v[106:107] op_sel_hi:[0,1,1]
	v_pk_mul_f32 v[62:63], v[62:63], s[42:43] op_sel:[1,0]
	v_mul_f32_e32 v38, 0x3eb8f4ab, v65
	v_pk_add_f32 v[24:25], v[88:89], v[24:25]
	v_pk_fma_f32 v[88:89], v[22:23], s[82:83], v[118:119] op_sel_hi:[0,1,1]
	v_pk_mul_f32 v[64:65], v[64:65], s[34:35] op_sel:[1,0]
	v_pk_fma_f32 v[120:121], v[10:11], s[38:39], v[62:63] op_sel:[1,0,0] neg_lo:[0,0,1] neg_hi:[0,0,1]
	v_mul_f32_e32 v58, 0xbf06c442, v93
	v_mul_f32_e32 v20, 0xbf7ba420, v11
	v_pk_add_f32 v[24:25], v[88:89], v[24:25]
	v_pk_fma_f32 v[88:89], v[56:57], s[40:41], v[64:65] op_sel_hi:[0,1,1] neg_lo:[0,0,1] neg_hi:[0,0,1]
	v_pk_mul_f32 v[92:93], v[92:93], s[50:51] op_sel:[1,0]
	v_pk_add_f32 v[120:121], v[120:121], v[6:7] op_sel:[0,1]
	v_pk_fma_f32 v[10:11], v[10:11], s[38:39], v[62:63] op_sel:[1,0,0]
	v_mul_f32_e32 v36, 0x3f6eb680, v56
	v_pk_fma_f32 v[94:95], v[60:61], s[44:45], v[92:93] op_sel_hi:[0,1,1] neg_lo:[0,0,1] neg_hi:[0,0,1]
	v_pk_mul_f32 v[98:99], v[98:99], s[56:57] op_sel:[1,0]
	v_pk_add_f32 v[88:89], v[88:89], v[120:121]
	v_pk_fma_f32 v[56:57], v[56:57], s[40:41], v[64:65] op_sel_hi:[0,1,1]
	v_pk_add_f32 v[10:11], v[10:11], v[6:7] op_sel:[0,1]
	v_mul_f32_e32 v54, 0xbf59a7d5, v60
	v_mul_f32_e32 v34, 0xbf4c4adb, v101
	v_pk_fma_f32 v[106:107], v[96:97], s[46:47], v[98:99] op_sel_hi:[0,1,1] neg_lo:[0,0,1] neg_hi:[0,0,1]
	v_pk_mul_f32 v[100:101], v[100:101], s[58:59] op_sel:[1,0]
	v_pk_add_f32 v[88:89], v[94:95], v[88:89]
	v_pk_fma_f32 v[60:61], v[60:61], s[44:45], v[92:93] op_sel_hi:[0,1,1]
	v_pk_add_f32 v[10:11], v[56:57], v[10:11]
	v_mul_f32_e32 v110, 0x3f65296c, v29
	v_pk_fma_f32 v[114:115], v[102:103], s[48:49], v[100:101] op_sel_hi:[0,1,1] neg_lo:[0,0,1] neg_hi:[0,0,1]
	v_pk_mul_f32 v[28:29], v[28:29], s[62:63] op_sel:[1,0]
	v_pk_add_f32 v[88:89], v[106:107], v[88:89]
	v_pk_fma_f32 v[64:65], v[96:97], s[46:47], v[98:99] op_sel_hi:[0,1,1]
	v_pk_add_f32 v[10:11], v[60:61], v[10:11]
	v_pk_fma_f32 v[118:119], v[104:105], s[52:53], v[28:29] op_sel_hi:[0,1,1] neg_lo:[0,0,1] neg_hi:[0,0,1]
	v_pk_add_f32 v[88:89], v[114:115], v[88:89]
	v_pk_mul_f32 v[94:95], v[112:113], s[64:65] op_sel:[1,0]
	v_pk_fma_f32 v[92:93], v[102:103], s[48:49], v[100:101] op_sel_hi:[0,1,1]
	v_pk_add_f32 v[10:11], v[64:65], v[10:11]
	v_pk_add_f32 v[88:89], v[118:119], v[88:89]
	v_pk_fma_f32 v[106:107], v[116:117], s[54:55], v[94:95] op_sel_hi:[0,1,1] neg_lo:[0,0,1] neg_hi:[0,0,1]
	v_pk_fma_f32 v[28:29], v[104:105], s[52:53], v[28:29] op_sel_hi:[0,1,1]
	v_pk_add_f32 v[10:11], v[92:93], v[10:11]
	v_pk_add_f32 v[88:89], v[106:107], v[88:89]
	v_pk_mul_f32 v[106:107], v[12:13], s[66:67] op_sel:[1,0]
	v_pk_add_f32 v[10:11], v[28:29], v[10:11]
	v_pk_fma_f32 v[28:29], v[116:117], s[54:55], v[94:95] op_sel_hi:[0,1,1]
	v_pk_add_f32 v[10:11], v[28:29], v[10:11]
	v_pk_fma_f32 v[28:29], v[22:23], s[60:61], v[106:107] op_sel_hi:[0,1,1]
	v_pk_add_f32 v[10:11], v[28:29], v[10:11]
	v_pk_add_f32 v[28:29], v[36:37], v[38:39] neg_lo:[0,1] neg_hi:[0,1]
	v_pk_add_f32 v[36:37], v[36:37], v[38:39]
	v_mul_f32_e32 v16, 0x3f3d2fb0, v96
	v_mov_b32_e32 v29, v36
	v_pk_add_f32 v[36:37], v[54:55], v[58:59] neg_lo:[0,1] neg_hi:[0,1]
	v_pk_add_f32 v[38:39], v[54:55], v[58:59]
	v_mul_f32_e32 v108, 0x3ee437d1, v104
	v_mov_b32_e32 v37, v38
	v_pk_add_f32 v[38:39], v[16:17], v[32:33] neg_lo:[0,1] neg_hi:[0,1]
	v_pk_add_f32 v[16:17], v[16:17], v[32:33]
	v_pk_add_f32 v[32:33], v[108:109], v[110:111]
	v_mov_b32_e32 v39, v16
	v_pk_add_f32 v[16:17], v[14:15], v[34:35] neg_lo:[0,1] neg_hi:[0,1]
	v_pk_add_f32 v[14:15], v[14:15], v[34:35]
	v_pk_add_f32 v[34:35], v[20:21], v[52:53]
	v_mov_b32_e32 v17, v14
	v_pk_add_f32 v[14:15], v[108:109], v[110:111] neg_lo:[0,1] neg_hi:[0,1]
	v_mul_f32_e32 v26, 0xbe8c1d8e, v116
	v_mov_b32_e32 v15, v32
	v_pk_add_f32 v[32:33], v[20:21], v[52:53] neg_lo:[0,1] neg_hi:[0,1]
	v_mul_f32_e32 v30, 0xbf763a35, v113
	v_mov_b32_e32 v33, v34
	v_pk_add_f32 v[6:7], v[32:33], v[6:7] op_sel:[0,1]
	v_pk_fma_f32 v[112:113], v[22:23], s[60:61], v[106:107] op_sel_hi:[0,1,1] neg_lo:[0,0,1] neg_hi:[0,0,1]
	v_pk_add_f32 v[6:7], v[28:29], v[6:7]
	v_mul_f32_e32 v12, 0x3dbcf732, v22
	v_pk_add_f32 v[6:7], v[36:37], v[6:7]
	v_mul_f32_e32 v22, 0x3f7ee86f, v13
	v_pk_add_f32 v[6:7], v[38:39], v[6:7]
	v_pk_add_f32 v[88:89], v[112:113], v[88:89]
	;; [unrolled: 1-line block ×5, first 2 shown]
	v_pk_add_f32 v[14:15], v[26:27], v[30:31] neg_lo:[0,1] neg_hi:[0,1]
	s_waitcnt lgkmcnt(0)
	v_mov_b32_e32 v15, v16
	v_pk_add_f32 v[6:7], v[14:15], v[6:7]
	v_pk_add_f32 v[14:15], v[12:13], v[22:23] neg_lo:[0,1] neg_hi:[0,1]
	v_pk_add_f32 v[12:13], v[12:13], v[22:23]
	s_barrier
	v_mov_b32_e32 v15, v12
	v_pk_add_f32 v[6:7], v[14:15], v[6:7]
	ds_write2_b32 v72, v18, v19 offset1:1
	ds_write2_b32 v72, v85, v84 offset0:2 offset1:3
	ds_write2_b32 v72, v90, v91 offset0:4 offset1:5
	;; [unrolled: 1-line block ×7, first 2 shown]
	ds_write_b32 v72, v21 offset:64
	s_waitcnt lgkmcnt(0)
	s_barrier
	ds_read2_b32 v[18:19], v77 offset0:33 offset1:152
	ds_read2_b32 v[16:17], v78 offset0:66 offset1:185
	ds_read2_b32 v[14:15], v79 offset0:99 offset1:218
	ds_read2_b32 v[12:13], v80 offset0:132 offset1:251
	ds_read2_b32 v[10:11], v81 offset0:37 offset1:156
	ds_read2_b32 v[6:7], v82 offset0:70 offset1:189
	ds_read_b32 v23, v53
	ds_read_b32 v20, v55
                                        ; implicit-def: $vgpr29
                                        ; implicit-def: $vgpr33
                                        ; implicit-def: $vgpr31
                                        ; implicit-def: $vgpr27
	s_and_saveexec_b64 s[4:5], s[0:1]
	s_cbranch_execz .LBB0_17
; %bb.16:
	ds_read_b32 v9, v53 offset:2108
	ds_read_b32 v21, v53 offset:3264
	ds_read_b32 v27, v53 offset:4420
	ds_read_b32 v29, v53 offset:5576
	ds_read_b32 v31, v53 offset:6732
	ds_read_b32 v8, v59
	ds_read_b32 v33, v53 offset:7888
.LBB0_17:
	s_or_b64 exec, exec, s[4:5]
	s_movk_i32 s4, 0xf1
	v_mul_lo_u16_sdwa v22, v68, s4 dst_sel:DWORD dst_unused:UNUSED_PAD src0_sel:BYTE_0 src1_sel:DWORD
	v_mul_lo_u16_sdwa v25, v70, s4 dst_sel:DWORD dst_unused:UNUSED_PAD src0_sel:BYTE_0 src1_sel:DWORD
	v_lshrrev_b16_e32 v61, 12, v22
	v_lshrrev_b16_e32 v77, 12, v25
	v_mul_lo_u16_e32 v22, 17, v61
	v_mul_lo_u16_e32 v25, 17, v77
	v_sub_u16_e32 v72, v68, v22
	v_mov_b32_e32 v22, 6
	v_sub_u16_e32 v70, v70, v25
	v_mul_u32_u24_sdwa v24, v72, v22 dst_sel:DWORD dst_unused:UNUSED_PAD src0_sel:BYTE_0 src1_sel:DWORD
	v_mul_u32_u24_sdwa v22, v70, v22 dst_sel:DWORD dst_unused:UNUSED_PAD src0_sel:BYTE_0 src1_sel:DWORD
	v_lshlrev_b32_e32 v24, 3, v24
	v_lshlrev_b32_e32 v22, 3, v22
	s_mov_b32 s4, 0xf0f1
	global_load_dwordx4 v[62:65], v24, s[8:9]
	global_load_dwordx4 v[78:81], v24, s[8:9] offset:16
	global_load_dwordx4 v[82:85], v24, s[8:9] offset:32
	global_load_dwordx4 v[88:91], v22, s[8:9]
	global_load_dwordx4 v[92:95], v22, s[8:9] offset:32
	global_load_dwordx4 v[96:99], v22, s[8:9] offset:16
	v_mul_u32_u24_sdwa v22, v69, s4 dst_sel:DWORD dst_unused:UNUSED_PAD src0_sel:WORD_0 src1_sel:DWORD
	v_lshrrev_b32_e32 v22, 20, v22
	v_mul_lo_u16_e32 v24, 17, v22
	v_sub_u16_e32 v69, v69, v24
	v_mul_u32_u24_e32 v24, 6, v69
	v_lshlrev_b32_e32 v24, 3, v24
	global_load_dwordx4 v[100:103], v24, s[8:9]
	global_load_dwordx4 v[104:107], v24, s[8:9] offset:16
	global_load_dwordx4 v[108:111], v24, s[8:9] offset:32
	s_mov_b32 s10, 0xbf5ff5aa
	s_mov_b32 s11, 0x3f3bfb3b
	;; [unrolled: 1-line block ×4, first 2 shown]
	s_waitcnt lgkmcnt(0)
	s_barrier
	s_waitcnt vmcnt(8)
	v_mul_f32_e32 v52, v18, v63
	v_mul_f32_e32 v28, v40, v63
	;; [unrolled: 1-line block ×3, first 2 shown]
	s_waitcnt vmcnt(7)
	v_mul_f32_e32 v56, v14, v79
	v_mul_f32_e32 v32, v48, v79
	v_mul_f32_e32 v63, v50, v81
	s_waitcnt vmcnt(6)
	v_mul_f32_e32 v60, v6, v85
	v_mul_f32_e32 v79, v44, v85
	s_waitcnt vmcnt(3)
	v_mul_f32_e32 v85, v49, v97
	v_mul_f32_e32 v30, v42, v65
	;; [unrolled: 1-line block ×4, first 2 shown]
	v_fmac_f32_e32 v54, v42, v64
	v_fma_f32 v42, v12, v80, -v63
	v_fma_f32 v12, v15, v96, -v85
	s_waitcnt vmcnt(1)
	v_mul_f32_e32 v15, v75, v107
	v_mul_f32_e32 v58, v10, v83
	v_fma_f32 v18, v18, v62, -v28
	v_mul_f32_e32 v28, v29, v107
	v_fma_f32 v29, v29, v106, -v15
	s_waitcnt vmcnt(0)
	v_mul_f32_e32 v15, v74, v109
	v_mul_f32_e32 v65, v46, v83
	;; [unrolled: 1-line block ×3, first 2 shown]
	v_fmac_f32_e32 v52, v40, v62
	v_fma_f32 v16, v16, v64, -v30
	v_fmac_f32_e32 v58, v46, v82
	v_fmac_f32_e32 v60, v44, v84
	v_mul_f32_e32 v30, v31, v109
	v_fma_f32 v31, v31, v108, -v15
	v_mul_f32_e32 v15, v73, v111
	v_mul_f32_e32 v34, v19, v89
	;; [unrolled: 1-line block ×11, first 2 shown]
	v_fmac_f32_e32 v56, v48, v78
	v_fma_f32 v14, v14, v78, -v32
	v_fmac_f32_e32 v57, v50, v80
	v_fma_f32 v46, v10, v82, -v65
	v_fma_f32 v44, v6, v84, -v79
	;; [unrolled: 1-line block ×3, first 2 shown]
	v_mul_f32_e32 v32, v33, v111
	v_fma_f32 v33, v33, v110, -v15
	v_add_f32_e32 v15, v52, v60
	v_add_f32_e32 v19, v54, v58
	v_mul_f32_e32 v25, v21, v103
	v_fmac_f32_e32 v34, v41, v88
	v_fmac_f32_e32 v35, v43, v90
	v_fma_f32 v10, v17, v90, -v83
	v_fmac_f32_e32 v24, v1, v100
	v_fma_f32 v1, v9, v100, -v93
	v_fma_f32 v9, v21, v102, -v95
	v_sub_f32_e32 v17, v18, v44
	v_sub_f32_e32 v21, v16, v46
	v_add_f32_e32 v40, v56, v57
	v_sub_f32_e32 v41, v42, v14
	v_add_f32_e32 v43, v19, v15
	v_fmac_f32_e32 v38, v47, v92
	v_fmac_f32_e32 v39, v45, v94
	v_sub_f32_e32 v45, v19, v15
	v_sub_f32_e32 v15, v15, v40
	;; [unrolled: 1-line block ×3, first 2 shown]
	v_add_f32_e32 v47, v41, v21
	v_sub_f32_e32 v48, v41, v21
	v_sub_f32_e32 v21, v21, v17
	v_add_f32_e32 v40, v40, v43
	v_fmac_f32_e32 v36, v49, v96
	v_sub_f32_e32 v41, v17, v41
	v_add_f32_e32 v17, v47, v17
	v_add_f32_e32 v43, v67, v40
	v_mul_f32_e32 v15, 0x3f4a47b2, v15
	v_mul_f32_e32 v47, 0x3d64c772, v19
	;; [unrolled: 1-line block ×4, first 2 shown]
	v_fmamk_f32 v40, v40, 0xbf955555, v43
	v_fma_f32 v47, v45, s11, -v47
	v_fma_f32 v45, v45, s12, -v15
	v_fmac_f32_e32 v15, 0x3d64c772, v19
	v_fma_f32 v19, v21, s10, -v48
	v_fmac_f32_e32 v48, 0xbeae86e6, v41
	v_fma_f32 v21, v41, s13, -v49
	v_mul_f32_e32 v37, v13, v99
	v_mul_f32_e32 v87, v51, v99
	v_add_f32_e32 v15, v15, v40
	v_add_f32_e32 v41, v47, v40
	;; [unrolled: 1-line block ×3, first 2 shown]
	v_fmac_f32_e32 v48, 0xbee1c552, v17
	v_fmac_f32_e32 v21, 0xbee1c552, v17
	;; [unrolled: 1-line block ×3, first 2 shown]
	v_fma_f32 v13, v13, v98, -v87
	v_fma_f32 v11, v11, v92, -v89
	;; [unrolled: 1-line block ×3, first 2 shown]
	v_fmac_f32_e32 v19, 0xbee1c552, v17
	v_add_f32_e32 v17, v48, v15
	v_add_f32_e32 v45, v21, v40
	v_sub_f32_e32 v21, v40, v21
	v_sub_f32_e32 v15, v15, v48
	v_add_f32_e32 v40, v34, v39
	v_add_f32_e32 v48, v35, v38
	v_sub_f32_e32 v47, v41, v19
	v_add_f32_e32 v19, v19, v41
	v_sub_f32_e32 v41, v6, v7
	v_sub_f32_e32 v49, v10, v11
	v_add_f32_e32 v50, v36, v37
	v_sub_f32_e32 v51, v13, v12
	v_add_f32_e32 v62, v48, v40
	v_sub_f32_e32 v63, v48, v40
	v_sub_f32_e32 v40, v40, v50
	;; [unrolled: 1-line block ×3, first 2 shown]
	v_add_f32_e32 v64, v51, v49
	v_sub_f32_e32 v65, v51, v49
	v_sub_f32_e32 v49, v49, v41
	v_add_f32_e32 v50, v50, v62
	v_sub_f32_e32 v51, v41, v51
	v_add_f32_e32 v41, v64, v41
	v_add_f32_e32 v62, v66, v50
	v_mul_f32_e32 v40, 0x3f4a47b2, v40
	v_mul_f32_e32 v64, 0x3d64c772, v48
	;; [unrolled: 1-line block ×4, first 2 shown]
	v_fmamk_f32 v50, v50, 0xbf955555, v62
	v_fma_f32 v64, v63, s11, -v64
	v_fma_f32 v63, v63, s12, -v40
	v_fmac_f32_e32 v40, 0x3d64c772, v48
	v_fma_f32 v48, v49, s10, -v65
	v_fma_f32 v49, v51, s13, -v66
	v_fmac_f32_e32 v65, 0xbeae86e6, v51
	v_add_f32_e32 v40, v40, v50
	v_add_f32_e32 v51, v64, v50
	;; [unrolled: 1-line block ×3, first 2 shown]
	v_fmac_f32_e32 v49, 0xbee1c552, v41
	v_fmac_f32_e32 v48, 0xbee1c552, v41
	v_add_f32_e32 v64, v49, v50
	v_sub_f32_e32 v49, v50, v49
	v_mov_b32_e32 v50, 2
	v_fmac_f32_e32 v65, 0xbee1c552, v41
	v_sub_f32_e32 v66, v51, v48
	v_add_f32_e32 v48, v48, v51
	v_mul_u32_u24_e32 v41, 0x1dc, v61
	v_lshlrev_b32_sdwa v51, v50, v72 dst_sel:DWORD dst_unused:UNUSED_PAD src0_sel:DWORD src1_sel:BYTE_0
	v_add3_u32 v41, 0, v41, v51
	ds_write2_b32 v41, v43, v17 offset1:17
	ds_write2_b32 v41, v45, v47 offset0:34 offset1:51
	ds_write2_b32 v41, v19, v21 offset0:68 offset1:85
	ds_write_b32 v41, v15 offset:408
	v_mul_u32_u24_e32 v15, 0x1dc, v77
	v_lshlrev_b32_sdwa v17, v50, v70 dst_sel:DWORD dst_unused:UNUSED_PAD src0_sel:DWORD src1_sel:BYTE_0
	v_mul_f32_e32 v26, v27, v105
	v_mul_f32_e32 v97, v76, v105
	v_add_f32_e32 v63, v65, v40
	v_sub_f32_e32 v40, v40, v65
	v_add3_u32 v43, 0, v15, v17
	v_fmac_f32_e32 v25, v71, v102
	v_fmac_f32_e32 v26, v76, v104
	v_fma_f32 v27, v27, v104, -v97
	v_fmac_f32_e32 v28, v75, v106
	v_fmac_f32_e32 v30, v74, v108
	;; [unrolled: 1-line block ×3, first 2 shown]
	ds_write2_b32 v43, v62, v63 offset1:17
	ds_write2_b32 v43, v64, v66 offset0:34 offset1:51
	ds_write2_b32 v43, v48, v49 offset0:68 offset1:85
	ds_write_b32 v43, v40 offset:408
	v_lshlrev_b32_e32 v40, 2, v69
	s_and_saveexec_b64 s[4:5], s[0:1]
	s_cbranch_execz .LBB0_19
; %bb.18:
	v_add_f32_e32 v15, v24, v32
	v_add_f32_e32 v21, v25, v30
	;; [unrolled: 1-line block ×4, first 2 shown]
	v_sub_f32_e32 v49, v29, v27
	v_sub_f32_e32 v51, v9, v31
	;; [unrolled: 1-line block ×4, first 2 shown]
	v_add_f32_e32 v17, v17, v48
	v_sub_f32_e32 v48, v1, v33
	v_sub_f32_e32 v61, v49, v51
	v_mul_f32_e32 v19, 0x3f4a47b2, v19
	v_mul_f32_e32 v47, 0x3d64c772, v45
	v_add_f32_e32 v0, v0, v17
	v_sub_f32_e32 v50, v48, v49
	v_mul_f32_e32 v61, 0x3f08b237, v61
	v_add_f32_e32 v49, v49, v51
	v_sub_f32_e32 v15, v21, v15
	v_sub_f32_e32 v21, v51, v48
	v_fmamk_f32 v45, v45, 0x3d64c772, v19
	v_fmamk_f32 v17, v17, 0xbf955555, v0
	;; [unrolled: 1-line block ×3, first 2 shown]
	v_add_f32_e32 v49, v49, v48
	v_fma_f32 v19, v15, s12, -v19
	v_mul_f32_e32 v48, 0xbf5ff5aa, v21
	v_fma_f32 v21, v21, s10, -v61
	v_fma_f32 v15, v15, s11, -v47
	v_add_f32_e32 v45, v45, v17
	v_fmac_f32_e32 v62, 0xbee1c552, v49
	v_fmac_f32_e32 v21, 0xbee1c552, v49
	v_add_f32_e32 v15, v15, v17
	v_sub_f32_e32 v63, v45, v62
	v_add_f32_e32 v19, v19, v17
	v_add_f32_e32 v17, v21, v15
	v_sub_f32_e32 v15, v15, v21
	v_add_f32_e32 v21, v62, v45
	v_mul_lo_u16_e32 v45, 0x77, v22
	v_fma_f32 v48, v50, s13, -v48
	v_lshlrev_b32_e32 v45, 2, v45
	v_fmac_f32_e32 v48, 0xbee1c552, v49
	v_add3_u32 v45, 0, v40, v45
	v_sub_f32_e32 v50, v19, v48
	v_add_f32_e32 v19, v48, v19
	ds_write2_b32 v45, v0, v21 offset1:17
	ds_write2_b32 v45, v19, v15 offset0:34 offset1:51
	ds_write2_b32 v45, v17, v50 offset0:68 offset1:85
	ds_write_b32 v45, v63 offset:408
.LBB0_19:
	s_or_b64 exec, exec, s[4:5]
	v_add_f32_e32 v0, v18, v44
	v_add_f32_e32 v16, v16, v46
	v_sub_f32_e32 v17, v54, v58
	v_add_f32_e32 v14, v14, v42
	v_sub_f32_e32 v18, v57, v56
	;; [unrolled: 2-line block ×3, first 2 shown]
	v_sub_f32_e32 v21, v16, v0
	v_sub_f32_e32 v0, v0, v14
	;; [unrolled: 1-line block ×3, first 2 shown]
	v_add_f32_e32 v42, v18, v17
	v_sub_f32_e32 v44, v18, v17
	v_add_f32_e32 v14, v14, v19
	v_sub_f32_e32 v18, v15, v18
	v_sub_f32_e32 v17, v17, v15
	v_add_f32_e32 v15, v42, v15
	v_add_f32_e32 v42, v23, v14
	v_mul_f32_e32 v0, 0x3f4a47b2, v0
	v_mul_f32_e32 v19, 0x3d64c772, v16
	;; [unrolled: 1-line block ×3, first 2 shown]
	v_fmamk_f32 v14, v14, 0xbf955555, v42
	v_fma_f32 v19, v21, s11, -v19
	v_fma_f32 v21, v21, s12, -v0
	v_fmac_f32_e32 v0, 0x3d64c772, v16
	v_fma_f32 v16, v17, s10, -v23
	v_fmac_f32_e32 v23, 0xbeae86e6, v18
	v_mul_f32_e32 v44, 0xbf5ff5aa, v17
	v_add_f32_e32 v0, v0, v14
	v_fmac_f32_e32 v23, 0xbee1c552, v15
	v_fma_f32 v17, v18, s13, -v44
	v_sub_f32_e32 v44, v0, v23
	v_add_f32_e32 v49, v23, v0
	v_add_f32_e32 v0, v6, v7
	;; [unrolled: 1-line block ×5, first 2 shown]
	v_fmac_f32_e32 v16, 0xbee1c552, v15
	v_fmac_f32_e32 v17, 0xbee1c552, v15
	v_sub_f32_e32 v6, v34, v39
	v_sub_f32_e32 v10, v35, v38
	v_add_f32_e32 v11, v12, v13
	v_sub_f32_e32 v12, v37, v36
	v_add_f32_e32 v13, v7, v0
	;; [unrolled: 2-line block ×4, first 2 shown]
	v_sub_f32_e32 v14, v7, v0
	v_sub_f32_e32 v0, v0, v11
	;; [unrolled: 1-line block ×3, first 2 shown]
	v_add_f32_e32 v15, v12, v10
	v_sub_f32_e32 v16, v12, v10
	v_sub_f32_e32 v10, v10, v6
	v_add_f32_e32 v11, v11, v13
	v_sub_f32_e32 v12, v6, v12
	v_add_f32_e32 v6, v15, v6
	v_add_f32_e32 v35, v20, v11
	v_mul_f32_e32 v0, 0x3f4a47b2, v0
	v_mul_f32_e32 v13, 0x3d64c772, v7
	;; [unrolled: 1-line block ×4, first 2 shown]
	v_fmamk_f32 v11, v11, 0xbf955555, v35
	v_fma_f32 v13, v14, s11, -v13
	v_fma_f32 v14, v14, s12, -v0
	v_fmac_f32_e32 v0, 0x3d64c772, v7
	v_fma_f32 v7, v10, s10, -v15
	v_fmac_f32_e32 v15, 0xbeae86e6, v12
	v_fma_f32 v10, v12, s13, -v16
	v_add_f32_e32 v0, v0, v11
	v_fmac_f32_e32 v15, 0xbee1c552, v6
	v_fmac_f32_e32 v7, 0xbee1c552, v6
	v_fmac_f32_e32 v10, 0xbee1c552, v6
	v_add_u32_e32 v6, 0x400, v53
	v_add_f32_e32 v12, v13, v11
	v_add_f32_e32 v11, v14, v11
	v_sub_f32_e32 v36, v0, v15
	v_add_f32_e32 v51, v15, v0
	s_waitcnt lgkmcnt(0)
	s_barrier
	ds_read_b32 v0, v53
	ds_read_b32 v34, v55
	;; [unrolled: 1-line block ×3, first 2 shown]
	ds_read2_b32 v[20:21], v6 offset0:101 offset1:220
	v_add_u32_e32 v6, 0x800, v53
	v_sub_f32_e32 v37, v11, v10
	v_add_f32_e32 v38, v7, v12
	v_sub_f32_e32 v39, v12, v7
	v_add_f32_e32 v50, v10, v11
	ds_read2_b32 v[18:19], v6 offset0:83 offset1:202
	v_add_u32_e32 v6, 0xc00, v53
	v_add_u32_e32 v10, 0x1000, v53
	;; [unrolled: 1-line block ×5, first 2 shown]
	ds_read2_b32 v[6:7], v6 offset0:65 offset1:184
	ds_read2_b32 v[10:11], v10 offset0:47 offset1:166
	;; [unrolled: 1-line block ×5, first 2 shown]
	s_waitcnt lgkmcnt(0)
	s_barrier
	ds_write2_b32 v41, v42, v44 offset1:17
	ds_write2_b32 v41, v45, v46 offset0:34 offset1:51
	ds_write2_b32 v41, v47, v48 offset0:68 offset1:85
	ds_write_b32 v41, v49 offset:408
	ds_write2_b32 v43, v35, v36 offset1:17
	ds_write2_b32 v43, v37, v38 offset0:34 offset1:51
	ds_write2_b32 v43, v39, v50 offset0:68 offset1:85
	ds_write_b32 v43, v51 offset:408
	s_and_saveexec_b64 s[4:5], s[0:1]
	s_cbranch_execz .LBB0_21
; %bb.20:
	v_add_f32_e32 v1, v1, v33
	v_add_f32_e32 v9, v9, v31
	;; [unrolled: 1-line block ×3, first 2 shown]
	v_sub_f32_e32 v25, v25, v30
	v_sub_f32_e32 v26, v28, v26
	v_add_f32_e32 v28, v9, v1
	v_sub_f32_e32 v29, v9, v1
	v_sub_f32_e32 v9, v27, v9
	;; [unrolled: 1-line block ×4, first 2 shown]
	v_add_f32_e32 v30, v26, v25
	v_sub_f32_e32 v31, v26, v25
	v_add_f32_e32 v27, v27, v28
	v_mul_f32_e32 v28, 0x3d64c772, v9
	s_mov_b32 s1, 0x3f3bfb3b
	v_sub_f32_e32 v26, v24, v26
	v_sub_f32_e32 v25, v25, v24
	v_add_f32_e32 v24, v30, v24
	v_add_f32_e32 v8, v8, v27
	v_mul_f32_e32 v1, 0x3f4a47b2, v1
	v_mul_f32_e32 v30, 0x3f08b237, v31
	s_mov_b32 s0, 0xbf5ff5aa
	v_fma_f32 v28, v29, s1, -v28
	s_mov_b32 s1, 0xbf3bfb3b
	v_mul_f32_e32 v31, 0xbf5ff5aa, v25
	v_fmamk_f32 v27, v27, 0xbf955555, v8
	v_fma_f32 v29, v29, s1, -v1
	v_fmac_f32_e32 v1, 0x3d64c772, v9
	v_fmamk_f32 v9, v26, 0xbeae86e6, v30
	v_fma_f32 v25, v25, s0, -v30
	s_mov_b32 s0, 0x3eae86e6
	v_fma_f32 v26, v26, s0, -v31
	v_add_f32_e32 v1, v1, v27
	v_fmac_f32_e32 v9, 0xbee1c552, v24
	v_fmac_f32_e32 v25, 0xbee1c552, v24
	;; [unrolled: 1-line block ×3, first 2 shown]
	v_sub_f32_e32 v24, v1, v9
	v_add_f32_e32 v1, v9, v1
	v_mul_lo_u16_e32 v9, 0x77, v22
	v_lshlrev_b32_e32 v9, 2, v9
	v_add_f32_e32 v28, v28, v27
	v_add_f32_e32 v27, v29, v27
	v_add3_u32 v9, 0, v40, v9
	v_sub_f32_e32 v29, v27, v26
	v_add_f32_e32 v30, v25, v28
	v_sub_f32_e32 v25, v28, v25
	v_add_f32_e32 v26, v26, v27
	ds_write2_b32 v9, v8, v24 offset1:17
	ds_write2_b32 v9, v29, v30 offset0:34 offset1:51
	ds_write2_b32 v9, v25, v26 offset0:68 offset1:85
	ds_write_b32 v9, v1 offset:408
.LBB0_21:
	s_or_b64 exec, exec, s[4:5]
	s_waitcnt lgkmcnt(0)
	s_barrier
	s_and_saveexec_b64 s[0:1], vcc
	s_cbranch_execz .LBB0_23
; %bb.22:
	v_lshlrev_b32_e32 v8, 4, v68
	v_mov_b32_e32 v9, 0
	v_lshl_add_u64 v[8:9], v[8:9], 3, s[8:9]
	global_load_dwordx4 v[30:33], v[8:9], off offset:816
	global_load_dwordx4 v[36:39], v[8:9], off offset:832
	;; [unrolled: 1-line block ×6, first 2 shown]
	ds_read_b32 v29, v55
	ds_read_b32 v1, v53
	;; [unrolled: 1-line block ×3, first 2 shown]
	global_load_dwordx4 v[78:81], v[8:9], off offset:896
	v_add_u32_e32 v28, 0x1a00, v53
	v_add_u32_e32 v40, 0x400, v53
	;; [unrolled: 1-line block ×7, first 2 shown]
	ds_read2_b32 v[42:43], v28 offset0:121 offset1:240
	ds_read2_b32 v[44:45], v40 offset0:101 offset1:220
	;; [unrolled: 1-line block ×7, first 2 shown]
	global_load_dwordx4 v[88:91], v[8:9], off offset:880
	v_mul_lo_u32 v26, s3, v4
	v_mul_lo_u32 v27, s2, v5
	v_mad_u64_u32 v[4:5], s[0:1], s2, v4, 0
	v_mad_u64_u32 v[24:25], s[0:1], s16, v86, 0
	v_add3_u32 v5, v5, v27, v26
	v_mov_b32_e32 v26, v25
	v_mad_u64_u32 v[26:27], s[0:1], s17, v86, v[26:27]
	v_lshl_add_u64 v[4:5], v[4:5], 3, s[6:7]
	v_lshl_add_u64 v[94:95], v[2:3], 3, v[4:5]
	s_waitcnt lgkmcnt(6)
	v_mov_b32_e32 v2, v43
	v_mov_b32_e32 v22, v17
	;; [unrolled: 1-line block ×3, first 2 shown]
	v_lshl_add_u64 v[8:9], v[24:25], 3, v[94:95]
	s_mov_b32 s8, 0x3f6eb680
	s_mov_b32 s9, 0xbeb8f4ab
	;; [unrolled: 1-line block ×47, first 2 shown]
	s_waitcnt vmcnt(7)
	v_mul_f32_e32 v27, v34, v30
	v_mul_f32_e32 v4, v34, v31
	;; [unrolled: 1-line block ×4, first 2 shown]
	s_waitcnt vmcnt(6)
	v_mul_f32_e32 v28, v20, v36
	v_mul_f32_e32 v17, v20, v37
	;; [unrolled: 1-line block ×4, first 2 shown]
	s_waitcnt vmcnt(5)
	v_mul_f32_e32 v21, v18, v61
	v_mul_f32_e32 v23, v19, v63
	s_waitcnt vmcnt(3)
	v_pk_mul_f32 v[2:3], v[2:3], v[66:67] op_sel_hi:[0,1]
	v_fmac_f32_e32 v27, v29, v31
	v_fma_f32 v29, v29, v30, -v4
	v_mul_f32_e32 v40, v18, v60
	v_mul_f32_e32 v46, v19, v62
	v_pk_mul_f32 v[18:19], v[42:43], v[64:65] op_sel_hi:[0,1]
	v_fma_f32 v42, v35, v32, -v5
	s_waitcnt lgkmcnt(5)
	v_fma_f32 v50, v45, v38, -v20
	s_waitcnt lgkmcnt(3)
	v_fma_f32 v58, v52, v60, -v21
	v_fma_f32 v47, v53, v62, -v23
	v_pk_fma_f32 v[20:21], v[22:23], v[66:67], v[2:3] op_sel:[0,0,1] op_sel_hi:[0,1,0]
	v_pk_fma_f32 v[22:23], v[22:23], v[66:67], v[2:3] op_sel:[0,0,1] op_sel_hi:[0,1,0] neg_lo:[1,0,0] neg_hi:[1,0,0]
	v_add_f32_e32 v2, v29, v1
	v_fmac_f32_e32 v28, v44, v37
	v_fma_f32 v44, v44, v36, -v17
	v_add_f32_e32 v2, v2, v42
	v_add_f32_e32 v2, v2, v44
	;; [unrolled: 1-line block ×5, first 2 shown]
	v_mov_b32_e32 v2, v49
	v_fmac_f32_e32 v26, v35, v33
	v_fmac_f32_e32 v34, v45, v39
	v_add_f32_e32 v4, v0, v27
	v_pk_fma_f32 v[36:37], v[16:17], v[64:65], v[18:19] op_sel:[0,0,1] op_sel_hi:[0,1,0]
	v_pk_fma_f32 v[38:39], v[16:17], v[64:65], v[18:19] op_sel:[0,0,1] op_sel_hi:[0,1,0] neg_lo:[1,0,0] neg_hi:[1,0,0]
	s_waitcnt vmcnt(2)
	v_pk_mul_f32 v[18:19], v[2:3], v[76:77] op_sel_hi:[0,1]
	v_mov_b32_e32 v2, v15
	v_add_f32_e32 v4, v4, v26
	v_pk_fma_f32 v[96:97], v[2:3], v[76:77], v[18:19] op_sel:[0,0,1] op_sel_hi:[0,1,0]
	v_pk_fma_f32 v[98:99], v[2:3], v[76:77], v[18:19] op_sel:[0,0,1] op_sel_hi:[0,1,0] neg_lo:[1,0,0] neg_hi:[1,0,0]
	v_pk_mul_f32 v[30:31], v[48:49], v[74:75] op_sel_hi:[0,1]
	s_waitcnt lgkmcnt(2)
	v_mov_b32_e32 v2, v57
	v_add_f32_e32 v4, v4, v28
	v_pk_fma_f32 v[48:49], v[14:15], v[74:75], v[30:31] op_sel:[0,0,1] op_sel_hi:[0,1,0]
	v_pk_fma_f32 v[100:101], v[14:15], v[74:75], v[30:31] op_sel:[0,0,1] op_sel_hi:[0,1,0] neg_lo:[1,0,0] neg_hi:[1,0,0]
	s_waitcnt vmcnt(1)
	v_pk_mul_f32 v[30:31], v[2:3], v[80:81] op_sel_hi:[0,1]
	v_mov_b32_e32 v2, v13
	v_fmac_f32_e32 v40, v52, v61
	v_fmac_f32_e32 v46, v53, v63
	v_add_f32_e32 v4, v4, v34
	v_pk_fma_f32 v[52:53], v[2:3], v[80:81], v[30:31] op_sel:[0,0,1] op_sel_hi:[0,1,0]
	v_pk_fma_f32 v[84:85], v[2:3], v[80:81], v[30:31] op_sel:[0,0,1] op_sel_hi:[0,1,0] neg_lo:[1,0,0] neg_hi:[1,0,0]
	v_pk_mul_f32 v[32:33], v[56:57], v[78:79] op_sel_hi:[0,1]
	s_waitcnt lgkmcnt(0)
	v_mov_b32_e32 v2, v93
	v_mul_f32_e32 v54, v6, v70
	v_mul_f32_e32 v6, v6, v71
	v_sub_f32_e32 v5, v27, v20
	v_add_f32_e32 v24, v4, v40
	v_pk_fma_f32 v[62:63], v[12:13], v[78:79], v[32:33] op_sel:[0,0,1] op_sel_hi:[0,1,0]
	v_pk_fma_f32 v[66:67], v[12:13], v[78:79], v[32:33] op_sel:[0,0,1] op_sel_hi:[0,1,0] neg_lo:[1,0,0] neg_hi:[1,0,0]
	s_waitcnt vmcnt(0)
	v_pk_mul_f32 v[32:33], v[2:3], v[90:91] op_sel_hi:[0,1]
	v_mov_b32_e32 v2, v11
	v_pk_mul_f32 v[56:57], v[92:93], v[88:89] op_sel_hi:[0,1]
	v_mov_b32_e32 v4, v7
	v_fmac_f32_e32 v54, v82, v71
	v_fma_f32 v55, v82, v70, -v6
	v_pk_fma_f32 v[68:69], v[2:3], v[90:91], v[32:33] op_sel:[0,0,1] op_sel_hi:[0,1,0]
	v_pk_fma_f32 v[70:71], v[2:3], v[90:91], v[32:33] op_sel:[0,0,1] op_sel_hi:[0,1,0] neg_lo:[1,0,0] neg_hi:[1,0,0]
	v_pk_fma_f32 v[64:65], v[10:11], v[88:89], v[56:57] op_sel:[0,0,1] op_sel_hi:[0,1,0]
	v_pk_fma_f32 v[60:61], v[10:11], v[88:89], v[56:57] op_sel:[0,0,1] op_sel_hi:[0,1,0] neg_lo:[1,0,0] neg_hi:[1,0,0]
	v_mov_b32_e32 v2, v83
	v_mov_b32_e32 v56, v73
	;; [unrolled: 1-line block ×3, first 2 shown]
	v_pk_mul_f32 v[6:7], v[4:5], v[72:73] op_sel_hi:[0,1]
	v_mov_b32_e32 v21, v23
	v_pk_fma_f32 v[72:73], v[2:3], v[56:57], v[6:7] op_sel_hi:[0,1,1]
	v_pk_fma_f32 v[82:83], v[2:3], v[56:57], v[6:7] op_sel_hi:[0,1,1] neg_lo:[0,0,1] neg_hi:[0,0,1]
	v_sub_f32_e32 v2, v29, v23
	v_pk_add_f32 v[22:23], v[24:25], v[46:47]
	v_mov_b32_e32 v6, v72
	v_mov_b32_e32 v7, v83
	v_pk_add_f32 v[22:23], v[22:23], v[54:55]
	v_mov_b32_e32 v10, v64
	v_mov_b32_e32 v11, v61
	;; [unrolled: 3-line block ×8, first 2 shown]
	v_pk_add_f32 v[6:7], v[18:19], v[6:7]
	v_add_u32_e32 v11, 0x42f, v86
	v_pk_add_f32 v[6:7], v[16:17], v[6:7]
	v_add_u32_e32 v13, 0x4a6, v86
	v_pk_add_f32 v[6:7], v[20:21], v[6:7]
	global_store_dwordx2 v[8:9], v[6:7], off
	v_add_u32_e32 v9, 0x77, v86
	v_mad_u64_u32 v[6:7], s[0:1], s16, v9, 0
	v_mov_b32_e32 v8, v7
	v_mad_u64_u32 v[8:9], s[0:1], s17, v9, v[8:9]
	v_mov_b32_e32 v7, v8
	v_add_u32_e32 v9, 0xee, v86
	v_lshl_add_u64 v[76:77], v[6:7], 3, v[94:95]
	v_mad_u64_u32 v[6:7], s[0:1], s16, v9, 0
	v_mov_b32_e32 v8, v7
	v_mad_u64_u32 v[8:9], s[0:1], s17, v9, v[8:9]
	v_mov_b32_e32 v7, v8
	v_add_u32_e32 v9, 0x165, v86
	v_lshl_add_u64 v[80:81], v[6:7], 3, v[94:95]
	;; [unrolled: 6-line block ×7, first 2 shown]
	v_mad_u64_u32 v[6:7], s[0:1], s16, v9, 0
	v_mov_b32_e32 v8, v7
	v_mad_u64_u32 v[8:9], s[0:1], s17, v9, v[8:9]
	v_mov_b32_e32 v7, v8
	;; [unrolled: 2-line block ×5, first 2 shown]
	v_mad_u64_u32 v[12:13], s[0:1], s17, v13, v[12:13]
	v_add_u32_e32 v15, 0x51d, v86
	v_mov_b32_e32 v11, v12
	v_mad_u64_u32 v[12:13], s[0:1], s16, v15, 0
	v_mov_b32_e32 v14, v13
	v_mad_u64_u32 v[14:15], s[0:1], s17, v15, v[14:15]
	v_add_u32_e32 v17, 0x594, v86
	v_mov_b32_e32 v13, v14
	v_mad_u64_u32 v[14:15], s[0:1], s16, v17, 0
	v_mov_b32_e32 v16, v15
	;; [unrolled: 5-line block ×3, first 2 shown]
	v_mad_u64_u32 v[18:19], s[0:1], s17, v19, v[18:19]
	v_add_u32_e32 v21, 0x682, v86
	v_mov_b32_e32 v17, v18
	v_mad_u64_u32 v[18:19], s[0:1], s16, v21, 0
	v_add_f32_e32 v4, v27, v20
	v_mov_b32_e32 v20, v19
	v_mad_u64_u32 v[20:21], s[0:1], s17, v21, v[20:21]
	v_add_u32_e32 v23, 0x6f9, v86
	v_mov_b32_e32 v19, v20
	v_mad_u64_u32 v[20:21], s[0:1], s16, v23, 0
	v_mov_b32_e32 v22, v21
	v_mad_u64_u32 v[22:23], s[0:1], s17, v23, v[22:23]
	v_add_u32_e32 v27, 0x770, v86
	v_mov_b32_e32 v21, v22
	v_mad_u64_u32 v[22:23], s[0:1], s16, v27, 0
	v_mov_b32_e32 v32, v23
	v_mad_u64_u32 v[32:33], s[0:1], s17, v27, v[32:33]
	v_pk_mul_f32 v[86:87], v[4:5], s[8:9]
	s_mov_b32 s0, s9
	s_mov_b32 s1, s8
	v_mov_b32_e32 v23, v32
	v_pk_fma_f32 v[32:33], v[2:3], s[0:1], v[86:87] neg_lo:[1,0,0] neg_hi:[1,0,0]
	v_pk_fma_f32 v[88:89], v[2:3], s[0:1], v[86:87]
	v_lshl_add_u64 v[6:7], v[6:7], 3, v[94:95]
	v_mov_b32_e32 v33, v89
	v_pk_add_f32 v[90:91], v[0:1], v[32:33]
	v_pk_add_f32 v[32:33], v[26:27], v[36:37]
	v_pk_add_f32 v[26:27], v[26:27], v[36:37] neg_lo:[0,1] neg_hi:[0,1]
	v_pk_add_f32 v[36:37], v[42:43], v[38:39] op_sel:[0,1] neg_lo:[0,1] neg_hi:[0,1]
	v_mov_b32_e32 v33, v26
	v_pk_add_f32 v[26:27], v[42:43], v[38:39] op_sel_hi:[0,1]
	v_pk_mul_f32 v[92:93], v[32:33], s[24:25]
	v_mov_b32_e32 v26, v36
	v_lshl_add_u64 v[8:9], v[8:9], 3, v[94:95]
	v_lshl_add_u64 v[10:11], v[10:11], 3, v[94:95]
	;; [unrolled: 1-line block ×8, first 2 shown]
	v_pk_fma_f32 v[38:39], v[36:37], s[18:19], v[92:93] neg_lo:[1,0,0] neg_hi:[1,0,0]
	v_pk_fma_f32 v[94:95], v[26:27], s[18:19], v[92:93]
	v_pk_add_f32 v[42:43], v[44:45], v[98:99] op_sel:[0,1] neg_lo:[0,1] neg_hi:[0,1]
	v_mov_b32_e32 v39, v95
	v_pk_add_f32 v[90:91], v[90:91], v[38:39]
	v_pk_add_f32 v[38:39], v[28:29], v[96:97]
	v_pk_add_f32 v[28:29], v[28:29], v[96:97] neg_lo:[0,1] neg_hi:[0,1]
	v_mov_b32_e32 v108, v47
	v_mov_b32_e32 v39, v28
	v_pk_add_f32 v[28:29], v[44:45], v[98:99] op_sel_hi:[0,1]
	v_pk_mul_f32 v[96:97], v[38:39], s[40:41]
	v_mov_b32_e32 v28, v42
	v_pk_fma_f32 v[44:45], v[42:43], s[36:37], v[96:97] neg_lo:[1,0,0] neg_hi:[1,0,0]
	v_pk_fma_f32 v[98:99], v[28:29], s[36:37], v[96:97]
	v_pk_fma_f32 v[86:87], v[2:3], s[0:1], v[86:87] neg_lo:[0,0,1] neg_hi:[0,0,1]
	v_mov_b32_e32 v45, v99
	v_pk_add_f32 v[90:91], v[90:91], v[44:45]
	v_pk_add_f32 v[44:45], v[34:35], v[48:49]
	v_pk_add_f32 v[34:35], v[34:35], v[48:49] neg_lo:[0,1] neg_hi:[0,1]
	v_pk_add_f32 v[48:49], v[50:51], v[100:101] op_sel:[0,1] neg_lo:[0,1] neg_hi:[0,1]
	v_mov_b32_e32 v45, v34
	v_pk_add_f32 v[34:35], v[50:51], v[100:101] op_sel_hi:[0,1]
	v_pk_mul_f32 v[102:103], v[44:45], s[22:23]
	v_mov_b32_e32 v34, v48
	v_pk_fma_f32 v[50:51], v[48:49], s[14:15], v[102:103] neg_lo:[1,0,0] neg_hi:[1,0,0]
	v_pk_fma_f32 v[100:101], v[34:35], s[14:15], v[102:103]
	v_mov_b32_e32 v112, v55
	v_mov_b32_e32 v51, v101
	v_pk_add_f32 v[90:91], v[90:91], v[50:51]
	v_pk_add_f32 v[50:51], v[40:41], v[52:53]
	v_pk_add_f32 v[40:41], v[40:41], v[52:53] neg_lo:[0,1] neg_hi:[0,1]
	v_pk_add_f32 v[52:53], v[58:59], v[84:85] op_sel:[0,1] neg_lo:[0,1] neg_hi:[0,1]
	v_mov_b32_e32 v51, v40
	v_pk_add_f32 v[40:41], v[58:59], v[84:85] op_sel_hi:[0,1]
	v_pk_mul_f32 v[104:105], v[50:51], s[4:5]
	v_mov_b32_e32 v40, v52
	v_pk_fma_f32 v[58:59], v[52:53], s[2:3], v[104:105] neg_lo:[1,0,0] neg_hi:[1,0,0]
	v_pk_fma_f32 v[84:85], v[40:41], s[2:3], v[104:105]
	v_mov_b32_e32 v89, v87
	v_mov_b32_e32 v59, v85
	v_pk_add_f32 v[90:91], v[90:91], v[58:59]
	v_pk_add_f32 v[58:59], v[46:47], v[62:63]
	v_pk_add_f32 v[62:63], v[46:47], v[62:63] neg_lo:[0,1] neg_hi:[0,1]
	v_mov_b32_e32 v46, v47
	v_mov_b32_e32 v59, v62
	v_pk_add_f32 v[62:63], v[46:47], v[66:67] op_sel:[0,1] neg_lo:[0,1] neg_hi:[0,1]
	v_pk_add_f32 v[46:47], v[108:109], v[66:67] op_sel_hi:[0,1]
	v_pk_mul_f32 v[106:107], v[58:59], s[10:11]
	v_mov_b32_e32 v46, v62
	v_pk_fma_f32 v[66:67], v[62:63], s[6:7], v[106:107] neg_lo:[1,0,0] neg_hi:[1,0,0]
	v_pk_fma_f32 v[108:109], v[46:47], s[6:7], v[106:107]
	v_pk_add_f32 v[86:87], v[0:1], v[88:89]
	v_mov_b32_e32 v67, v109
	v_pk_add_f32 v[90:91], v[90:91], v[66:67]
	v_pk_add_f32 v[66:67], v[54:55], v[68:69]
	v_pk_add_f32 v[68:69], v[54:55], v[68:69] neg_lo:[0,1] neg_hi:[0,1]
	v_mov_b32_e32 v54, v55
	v_mov_b32_e32 v67, v68
	v_pk_add_f32 v[68:69], v[54:55], v[70:71] op_sel:[0,1] neg_lo:[0,1] neg_hi:[0,1]
	v_pk_add_f32 v[54:55], v[112:113], v[70:71] op_sel_hi:[0,1]
	v_pk_fma_f32 v[88:89], v[26:27], s[18:19], v[92:93] neg_lo:[0,0,1] neg_hi:[0,0,1]
	v_pk_mul_f32 v[110:111], v[66:67], s[20:21]
	v_mov_b32_e32 v54, v68
	v_mov_b32_e32 v95, v89
	v_pk_fma_f32 v[88:89], v[28:29], s[36:37], v[96:97] neg_lo:[0,0,1] neg_hi:[0,0,1]
	v_pk_fma_f32 v[70:71], v[68:69], s[12:13], v[110:111] neg_lo:[1,0,0] neg_hi:[1,0,0]
	v_pk_fma_f32 v[112:113], v[54:55], s[12:13], v[110:111]
	v_pk_add_f32 v[86:87], v[86:87], v[94:95]
	v_mov_b32_e32 v99, v89
	v_pk_fma_f32 v[88:89], v[34:35], s[14:15], v[102:103] neg_lo:[0,0,1] neg_hi:[0,0,1]
	v_mov_b32_e32 v71, v113
	v_pk_add_f32 v[86:87], v[86:87], v[98:99]
	v_mov_b32_e32 v101, v89
	v_pk_fma_f32 v[88:89], v[40:41], s[2:3], v[104:105] neg_lo:[0,0,1] neg_hi:[0,0,1]
	v_pk_add_f32 v[90:91], v[90:91], v[70:71]
	v_pk_add_f32 v[70:71], v[72:73], v[64:65]
	v_pk_add_f32 v[64:65], v[72:73], v[64:65] neg_lo:[0,1] neg_hi:[0,1]
	v_pk_add_f32 v[86:87], v[86:87], v[100:101]
	v_mov_b32_e32 v85, v89
	v_mov_b32_e32 v71, v64
	v_pk_add_f32 v[72:73], v[82:83], v[60:61] neg_lo:[0,1] neg_hi:[0,1]
	v_pk_add_f32 v[64:65], v[82:83], v[60:61]
	v_pk_add_f32 v[84:85], v[86:87], v[84:85]
	v_pk_fma_f32 v[86:87], v[46:47], s[6:7], v[106:107] neg_lo:[0,0,1] neg_hi:[0,0,1]
	v_pk_mul_f32 v[114:115], v[70:71], s[26:27]
	v_mov_b32_e32 v64, v73
	s_mov_b32 s16, s27
	s_mov_b32 s17, s26
	v_mov_b32_e32 v109, v87
	v_pk_fma_f32 v[86:87], v[54:55], s[12:13], v[110:111] neg_lo:[0,0,1] neg_hi:[0,0,1]
	v_pk_fma_f32 v[60:61], v[72:73], s[16:17], v[114:115] op_sel:[1,0,0] neg_lo:[1,0,0] neg_hi:[1,0,0]
	v_pk_fma_f32 v[82:83], v[64:65], s[16:17], v[114:115]
	v_pk_add_f32 v[84:85], v[84:85], v[108:109]
	v_mov_b32_e32 v113, v87
	v_pk_fma_f32 v[86:87], v[64:65], s[16:17], v[114:115] neg_lo:[0,0,1] neg_hi:[0,0,1]
	v_mov_b32_e32 v61, v83
	v_pk_add_f32 v[84:85], v[84:85], v[112:113]
	v_mov_b32_e32 v83, v87
	v_pk_add_f32 v[82:83], v[84:85], v[82:83]
	global_store_dwordx2 v[76:77], v[82:83], off
	v_pk_mul_f32 v[82:83], v[4:5], s[24:25]
	v_pk_mul_f32 v[86:87], v[32:33], s[22:23]
	v_pk_fma_f32 v[76:77], v[2:3], s[18:19], v[82:83] neg_lo:[1,0,0] neg_hi:[1,0,0]
	v_pk_fma_f32 v[84:85], v[2:3], s[18:19], v[82:83]
	v_pk_add_f32 v[60:61], v[90:91], v[60:61]
	v_mov_b32_e32 v77, v85
	v_pk_fma_f32 v[88:89], v[36:37], s[14:15], v[86:87] neg_lo:[1,0,0] neg_hi:[1,0,0]
	v_pk_fma_f32 v[90:91], v[26:27], s[14:15], v[86:87]
	v_pk_add_f32 v[76:77], v[0:1], v[76:77]
	v_mov_b32_e32 v89, v91
	v_pk_add_f32 v[76:77], v[76:77], v[88:89]
	v_pk_mul_f32 v[88:89], v[38:39], s[10:11]
	v_pk_fma_f32 v[82:83], v[2:3], s[18:19], v[82:83] neg_lo:[0,0,1] neg_hi:[0,0,1]
	v_pk_fma_f32 v[92:93], v[42:43], s[6:7], v[88:89] neg_lo:[1,0,0] neg_hi:[1,0,0]
	v_pk_fma_f32 v[94:95], v[28:29], s[6:7], v[88:89]
	v_mov_b32_e32 v85, v83
	v_mov_b32_e32 v93, v95
	v_pk_add_f32 v[76:77], v[76:77], v[92:93]
	v_pk_mul_f32 v[92:93], v[44:45], s[26:27]
	v_pk_add_f32 v[82:83], v[0:1], v[84:85]
	v_pk_fma_f32 v[96:97], v[48:49], s[16:17], v[92:93] neg_lo:[1,0,0] neg_hi:[1,0,0]
	v_pk_fma_f32 v[98:99], v[34:35], s[16:17], v[92:93]
	v_pk_fma_f32 v[84:85], v[26:27], s[14:15], v[86:87] neg_lo:[0,0,1] neg_hi:[0,0,1]
	v_mov_b32_e32 v97, v99
	v_pk_add_f32 v[76:77], v[76:77], v[96:97]
	v_pk_mul_f32 v[96:97], v[50:51], s[54:55]
	v_mov_b32_e32 v91, v85
	v_pk_fma_f32 v[100:101], v[52:53], s[50:51], v[96:97] neg_lo:[1,0,0] neg_hi:[1,0,0]
	v_pk_fma_f32 v[102:103], v[40:41], s[50:51], v[96:97]
	v_pk_fma_f32 v[84:85], v[28:29], s[6:7], v[88:89] neg_lo:[0,0,1] neg_hi:[0,0,1]
	v_mov_b32_e32 v101, v103
	v_pk_add_f32 v[76:77], v[76:77], v[100:101]
	v_pk_mul_f32 v[100:101], v[58:59], s[48:49]
	v_pk_add_f32 v[82:83], v[82:83], v[90:91]
	v_pk_fma_f32 v[104:105], v[62:63], s[46:47], v[100:101] neg_lo:[1,0,0] neg_hi:[1,0,0]
	v_pk_fma_f32 v[106:107], v[46:47], s[46:47], v[100:101]
	v_mov_b32_e32 v95, v85
	v_mov_b32_e32 v105, v107
	v_pk_add_f32 v[76:77], v[76:77], v[104:105]
	v_pk_mul_f32 v[104:105], v[66:67], s[34:35]
	v_pk_fma_f32 v[84:85], v[34:35], s[16:17], v[92:93] neg_lo:[0,0,1] neg_hi:[0,0,1]
	v_pk_fma_f32 v[108:109], v[68:69], s[28:29], v[104:105] neg_lo:[1,0,0] neg_hi:[1,0,0]
	v_pk_fma_f32 v[110:111], v[54:55], s[28:29], v[104:105]
	v_pk_add_f32 v[82:83], v[82:83], v[94:95]
	v_mov_b32_e32 v99, v85
	v_pk_fma_f32 v[84:85], v[40:41], s[50:51], v[96:97] neg_lo:[0,0,1] neg_hi:[0,0,1]
	v_mov_b32_e32 v109, v111
	v_pk_add_f32 v[82:83], v[82:83], v[98:99]
	v_mov_b32_e32 v103, v85
	v_pk_fma_f32 v[84:85], v[46:47], s[46:47], v[100:101] neg_lo:[0,0,1] neg_hi:[0,0,1]
	v_pk_add_f32 v[76:77], v[76:77], v[108:109]
	v_pk_mul_f32 v[108:109], v[70:71], s[38:39]
	v_pk_add_f32 v[82:83], v[82:83], v[102:103]
	v_mov_b32_e32 v107, v85
	v_pk_fma_f32 v[84:85], v[54:55], s[28:29], v[104:105] neg_lo:[0,0,1] neg_hi:[0,0,1]
	v_pk_fma_f32 v[112:113], v[72:73], s[30:31], v[108:109] op_sel:[1,0,0] neg_lo:[1,0,0] neg_hi:[1,0,0]
	v_pk_fma_f32 v[114:115], v[64:65], s[30:31], v[108:109]
	v_pk_add_f32 v[82:83], v[82:83], v[106:107]
	v_mov_b32_e32 v111, v85
	v_pk_fma_f32 v[84:85], v[64:65], s[30:31], v[108:109] neg_lo:[0,0,1] neg_hi:[0,0,1]
	v_mov_b32_e32 v113, v115
	v_pk_add_f32 v[82:83], v[82:83], v[110:111]
	v_mov_b32_e32 v115, v85
	v_pk_add_f32 v[82:83], v[82:83], v[114:115]
	global_store_dwordx2 v[80:81], v[82:83], off
	v_pk_mul_f32 v[82:83], v[4:5], s[40:41]
	v_pk_mul_f32 v[86:87], v[32:33], s[10:11]
	v_pk_fma_f32 v[80:81], v[2:3], s[36:37], v[82:83] neg_lo:[1,0,0] neg_hi:[1,0,0]
	v_pk_fma_f32 v[84:85], v[2:3], s[36:37], v[82:83]
	v_pk_fma_f32 v[88:89], v[36:37], s[6:7], v[86:87] neg_lo:[1,0,0] neg_hi:[1,0,0]
	v_mov_b32_e32 v81, v85
	v_pk_fma_f32 v[90:91], v[26:27], s[6:7], v[86:87]
	v_pk_add_f32 v[80:81], v[0:1], v[80:81]
	v_mov_b32_e32 v89, v91
	v_pk_add_f32 v[80:81], v[80:81], v[88:89]
	v_pk_mul_f32 v[88:89], v[38:39], s[42:43]
	s_mov_b32 s45, 0x3f2c7751
	v_pk_fma_f32 v[92:93], v[42:43], s[52:53], v[88:89] neg_lo:[1,0,0] neg_hi:[1,0,0]
	v_pk_fma_f32 v[94:95], v[28:29], s[52:53], v[88:89]
	s_mov_b32 s44, s24
	v_mov_b32_e32 v93, v95
	v_pk_add_f32 v[80:81], v[80:81], v[92:93]
	v_pk_mul_f32 v[92:93], v[44:45], s[48:49]
	s_mov_b32 s42, s45
	v_pk_fma_f32 v[96:97], v[48:49], s[46:47], v[92:93] neg_lo:[1,0,0] neg_hi:[1,0,0]
	v_pk_fma_f32 v[98:99], v[34:35], s[46:47], v[92:93]
	s_mov_b32 s43, s24
	v_mov_b32_e32 v97, v99
	v_pk_add_f32 v[80:81], v[80:81], v[96:97]
	v_pk_mul_f32 v[96:97], v[50:51], s[44:45]
	v_pk_fma_f32 v[82:83], v[2:3], s[36:37], v[82:83] neg_lo:[0,0,1] neg_hi:[0,0,1]
	v_pk_fma_f32 v[100:101], v[52:53], s[42:43], v[96:97] neg_lo:[1,0,0] neg_hi:[1,0,0]
	v_pk_fma_f32 v[102:103], v[40:41], s[42:43], v[96:97]
	v_mov_b32_e32 v85, v83
	v_mov_b32_e32 v101, v103
	v_pk_add_f32 v[80:81], v[80:81], v[100:101]
	v_pk_mul_f32 v[100:101], v[58:59], s[8:9]
	v_pk_add_f32 v[82:83], v[0:1], v[84:85]
	v_pk_fma_f32 v[104:105], v[62:63], s[0:1], v[100:101] neg_lo:[1,0,0] neg_hi:[1,0,0]
	v_pk_fma_f32 v[106:107], v[46:47], s[0:1], v[100:101]
	v_pk_fma_f32 v[84:85], v[26:27], s[6:7], v[86:87] neg_lo:[0,0,1] neg_hi:[0,0,1]
	v_mov_b32_e32 v105, v107
	v_mov_b32_e32 v91, v85
	v_pk_fma_f32 v[84:85], v[28:29], s[52:53], v[88:89] neg_lo:[0,0,1] neg_hi:[0,0,1]
	v_pk_add_f32 v[80:81], v[80:81], v[104:105]
	v_pk_mul_f32 v[104:105], v[66:67], s[22:23]
	v_pk_add_f32 v[82:83], v[82:83], v[90:91]
	v_mov_b32_e32 v95, v85
	v_pk_fma_f32 v[84:85], v[34:35], s[46:47], v[92:93] neg_lo:[0,0,1] neg_hi:[0,0,1]
	v_pk_fma_f32 v[108:109], v[68:69], s[14:15], v[104:105] neg_lo:[1,0,0] neg_hi:[1,0,0]
	v_pk_fma_f32 v[110:111], v[54:55], s[14:15], v[104:105]
	v_pk_add_f32 v[82:83], v[82:83], v[94:95]
	v_mov_b32_e32 v99, v85
	v_pk_fma_f32 v[84:85], v[40:41], s[42:43], v[96:97] neg_lo:[0,0,1] neg_hi:[0,0,1]
	v_mov_b32_e32 v109, v111
	v_pk_add_f32 v[82:83], v[82:83], v[98:99]
	v_mov_b32_e32 v103, v85
	v_pk_fma_f32 v[84:85], v[46:47], s[0:1], v[100:101] neg_lo:[0,0,1] neg_hi:[0,0,1]
	v_pk_add_f32 v[80:81], v[80:81], v[108:109]
	v_pk_mul_f32 v[108:109], v[70:71], s[20:21]
	v_pk_add_f32 v[82:83], v[82:83], v[102:103]
	v_mov_b32_e32 v107, v85
	v_pk_fma_f32 v[84:85], v[54:55], s[14:15], v[104:105] neg_lo:[0,0,1] neg_hi:[0,0,1]
	v_pk_add_f32 v[76:77], v[76:77], v[112:113]
	v_pk_fma_f32 v[112:113], v[72:73], s[12:13], v[108:109] op_sel:[1,0,0] neg_lo:[1,0,0] neg_hi:[1,0,0]
	v_pk_fma_f32 v[114:115], v[64:65], s[12:13], v[108:109]
	v_pk_add_f32 v[82:83], v[82:83], v[106:107]
	v_mov_b32_e32 v111, v85
	v_pk_fma_f32 v[84:85], v[64:65], s[12:13], v[108:109] neg_lo:[0,0,1] neg_hi:[0,0,1]
	v_mov_b32_e32 v113, v115
	v_pk_add_f32 v[82:83], v[82:83], v[110:111]
	v_mov_b32_e32 v115, v85
	v_pk_add_f32 v[82:83], v[82:83], v[114:115]
	global_store_dwordx2 v[78:79], v[82:83], off
	v_pk_mul_f32 v[82:83], v[4:5], s[22:23]
	v_pk_mul_f32 v[86:87], v[32:33], s[26:27]
	v_pk_fma_f32 v[78:79], v[2:3], s[14:15], v[82:83] neg_lo:[1,0,0] neg_hi:[1,0,0]
	v_pk_fma_f32 v[84:85], v[2:3], s[14:15], v[82:83]
	v_pk_fma_f32 v[100:101], v[36:37], s[16:17], v[86:87] neg_lo:[1,0,0] neg_hi:[1,0,0]
	v_mov_b32_e32 v79, v85
	v_pk_fma_f32 v[102:103], v[26:27], s[16:17], v[86:87]
	v_pk_add_f32 v[78:79], v[0:1], v[78:79]
	v_pk_mul_f32 v[88:89], v[38:39], s[48:49]
	v_mov_b32_e32 v101, v103
	v_pk_add_f32 v[78:79], v[78:79], v[100:101]
	v_pk_fma_f32 v[100:101], v[42:43], s[46:47], v[88:89] neg_lo:[1,0,0] neg_hi:[1,0,0]
	v_pk_fma_f32 v[104:105], v[28:29], s[46:47], v[88:89]
	v_pk_mul_f32 v[90:91], v[44:45], s[38:39]
	v_mov_b32_e32 v101, v105
	v_pk_add_f32 v[78:79], v[78:79], v[100:101]
	v_pk_fma_f32 v[100:101], v[48:49], s[30:31], v[90:91] neg_lo:[1,0,0] neg_hi:[1,0,0]
	v_pk_fma_f32 v[106:107], v[34:35], s[30:31], v[90:91]
	v_pk_fma_f32 v[82:83], v[2:3], s[14:15], v[82:83] neg_lo:[0,0,1] neg_hi:[0,0,1]
	v_pk_mul_f32 v[92:93], v[50:51], s[40:41]
	v_mov_b32_e32 v101, v107
	v_mov_b32_e32 v85, v83
	v_pk_add_f32 v[78:79], v[78:79], v[100:101]
	v_pk_fma_f32 v[100:101], v[52:53], s[36:37], v[92:93] neg_lo:[1,0,0] neg_hi:[1,0,0]
	v_pk_fma_f32 v[108:109], v[40:41], s[36:37], v[92:93]
	v_pk_add_f32 v[82:83], v[0:1], v[84:85]
	v_pk_fma_f32 v[84:85], v[26:27], s[16:17], v[86:87] neg_lo:[0,0,1] neg_hi:[0,0,1]
	v_pk_mul_f32 v[94:95], v[58:59], s[20:21]
	v_mov_b32_e32 v101, v109
	v_mov_b32_e32 v103, v85
	v_pk_fma_f32 v[84:85], v[28:29], s[46:47], v[88:89] neg_lo:[0,0,1] neg_hi:[0,0,1]
	s_mov_b32 s57, 0x3f4c4adb
	s_mov_b32 s56, s10
	v_pk_add_f32 v[78:79], v[78:79], v[100:101]
	v_pk_fma_f32 v[100:101], v[62:63], s[12:13], v[94:95] neg_lo:[1,0,0] neg_hi:[1,0,0]
	v_pk_fma_f32 v[110:111], v[46:47], s[12:13], v[94:95]
	v_pk_add_f32 v[82:83], v[82:83], v[102:103]
	v_mov_b32_e32 v105, v85
	v_pk_fma_f32 v[84:85], v[34:35], s[30:31], v[90:91] neg_lo:[0,0,1] neg_hi:[0,0,1]
	v_pk_mul_f32 v[96:97], v[66:67], s[56:57]
	s_mov_b32 s52, s57
	s_mov_b32 s53, s10
	v_mov_b32_e32 v101, v111
	v_pk_add_f32 v[82:83], v[82:83], v[104:105]
	v_mov_b32_e32 v107, v85
	v_pk_fma_f32 v[84:85], v[40:41], s[36:37], v[92:93] neg_lo:[0,0,1] neg_hi:[0,0,1]
	v_pk_add_f32 v[80:81], v[80:81], v[112:113]
	v_pk_add_f32 v[78:79], v[78:79], v[100:101]
	v_pk_fma_f32 v[100:101], v[68:69], s[52:53], v[96:97] neg_lo:[1,0,0] neg_hi:[1,0,0]
	v_pk_fma_f32 v[112:113], v[54:55], s[52:53], v[96:97]
	v_pk_add_f32 v[82:83], v[82:83], v[106:107]
	v_mov_b32_e32 v109, v85
	v_pk_fma_f32 v[84:85], v[46:47], s[12:13], v[94:95] neg_lo:[0,0,1] neg_hi:[0,0,1]
	v_pk_mul_f32 v[98:99], v[70:71], s[44:45]
	v_mov_b32_e32 v101, v113
	v_pk_add_f32 v[82:83], v[82:83], v[108:109]
	v_mov_b32_e32 v111, v85
	v_pk_fma_f32 v[84:85], v[54:55], s[52:53], v[96:97] neg_lo:[0,0,1] neg_hi:[0,0,1]
	v_pk_add_f32 v[78:79], v[78:79], v[100:101]
	v_pk_fma_f32 v[100:101], v[72:73], s[42:43], v[98:99] op_sel:[1,0,0] neg_lo:[1,0,0] neg_hi:[1,0,0]
	v_pk_fma_f32 v[114:115], v[64:65], s[42:43], v[98:99]
	v_pk_add_f32 v[82:83], v[82:83], v[110:111]
	v_mov_b32_e32 v113, v85
	v_pk_fma_f32 v[84:85], v[64:65], s[42:43], v[98:99] neg_lo:[0,0,1] neg_hi:[0,0,1]
	v_mov_b32_e32 v101, v115
	v_pk_add_f32 v[82:83], v[82:83], v[112:113]
	v_mov_b32_e32 v115, v85
	v_pk_add_f32 v[82:83], v[82:83], v[114:115]
	global_store_dwordx2 v[74:75], v[82:83], off
	v_pk_mul_f32 v[82:83], v[4:5], s[4:5]
	v_pk_mul_f32 v[86:87], v[32:33], s[54:55]
	v_pk_fma_f32 v[74:75], v[2:3], s[2:3], v[82:83] neg_lo:[1,0,0] neg_hi:[1,0,0]
	v_pk_fma_f32 v[84:85], v[2:3], s[2:3], v[82:83]
	v_pk_add_f32 v[78:79], v[78:79], v[100:101]
	v_mov_b32_e32 v75, v85
	v_pk_fma_f32 v[100:101], v[36:37], s[50:51], v[86:87] neg_lo:[1,0,0] neg_hi:[1,0,0]
	v_pk_fma_f32 v[102:103], v[26:27], s[50:51], v[86:87]
	v_pk_add_f32 v[74:75], v[0:1], v[74:75]
	v_pk_mul_f32 v[88:89], v[38:39], s[44:45]
	v_mov_b32_e32 v101, v103
	v_pk_add_f32 v[74:75], v[74:75], v[100:101]
	v_pk_fma_f32 v[100:101], v[42:43], s[42:43], v[88:89] neg_lo:[1,0,0] neg_hi:[1,0,0]
	v_pk_fma_f32 v[104:105], v[28:29], s[42:43], v[88:89]
	v_pk_mul_f32 v[90:91], v[44:45], s[40:41]
	v_mov_b32_e32 v101, v105
	v_pk_add_f32 v[74:75], v[74:75], v[100:101]
	v_pk_fma_f32 v[100:101], v[48:49], s[36:37], v[90:91] neg_lo:[1,0,0] neg_hi:[1,0,0]
	v_pk_fma_f32 v[106:107], v[34:35], s[36:37], v[90:91]
	v_pk_fma_f32 v[82:83], v[2:3], s[2:3], v[82:83] neg_lo:[0,0,1] neg_hi:[0,0,1]
	v_pk_mul_f32 v[92:93], v[50:51], s[26:27]
	v_mov_b32_e32 v101, v107
	v_mov_b32_e32 v85, v83
	s_mov_b32 s55, 0x3f7ee86f
	s_mov_b32 s54, s22
	v_pk_add_f32 v[74:75], v[74:75], v[100:101]
	v_pk_fma_f32 v[100:101], v[52:53], s[16:17], v[92:93] neg_lo:[1,0,0] neg_hi:[1,0,0]
	v_pk_fma_f32 v[108:109], v[40:41], s[16:17], v[92:93]
	v_pk_add_f32 v[82:83], v[0:1], v[84:85]
	v_pk_fma_f32 v[84:85], v[26:27], s[50:51], v[86:87] neg_lo:[0,0,1] neg_hi:[0,0,1]
	v_pk_mul_f32 v[94:95], v[58:59], s[54:55]
	s_mov_b32 s40, s55
	s_mov_b32 s41, s22
	v_mov_b32_e32 v101, v109
	v_mov_b32_e32 v103, v85
	v_pk_fma_f32 v[84:85], v[28:29], s[42:43], v[88:89] neg_lo:[0,0,1] neg_hi:[0,0,1]
	v_pk_add_f32 v[74:75], v[74:75], v[100:101]
	v_pk_fma_f32 v[100:101], v[62:63], s[40:41], v[94:95] neg_lo:[1,0,0] neg_hi:[1,0,0]
	v_pk_fma_f32 v[110:111], v[46:47], s[40:41], v[94:95]
	v_pk_add_f32 v[82:83], v[82:83], v[102:103]
	v_mov_b32_e32 v105, v85
	v_pk_fma_f32 v[84:85], v[34:35], s[36:37], v[90:91] neg_lo:[0,0,1] neg_hi:[0,0,1]
	v_pk_mul_f32 v[96:97], v[66:67], s[8:9]
	v_mov_b32_e32 v101, v111
	v_pk_add_f32 v[82:83], v[82:83], v[104:105]
	v_mov_b32_e32 v107, v85
	v_pk_fma_f32 v[84:85], v[40:41], s[16:17], v[92:93] neg_lo:[0,0,1] neg_hi:[0,0,1]
	v_pk_add_f32 v[74:75], v[74:75], v[100:101]
	v_pk_fma_f32 v[100:101], v[68:69], s[0:1], v[96:97] neg_lo:[1,0,0] neg_hi:[1,0,0]
	v_pk_fma_f32 v[112:113], v[54:55], s[0:1], v[96:97]
	v_pk_add_f32 v[82:83], v[82:83], v[106:107]
	v_mov_b32_e32 v109, v85
	v_pk_fma_f32 v[84:85], v[46:47], s[40:41], v[94:95] neg_lo:[0,0,1] neg_hi:[0,0,1]
	v_pk_mul_f32 v[98:99], v[70:71], s[10:11]
	v_mov_b32_e32 v101, v113
	v_pk_add_f32 v[82:83], v[82:83], v[108:109]
	v_mov_b32_e32 v111, v85
	v_pk_fma_f32 v[84:85], v[54:55], s[0:1], v[96:97] neg_lo:[0,0,1] neg_hi:[0,0,1]
	v_pk_add_f32 v[74:75], v[74:75], v[100:101]
	v_pk_fma_f32 v[100:101], v[72:73], s[6:7], v[98:99] op_sel:[1,0,0] neg_lo:[1,0,0] neg_hi:[1,0,0]
	v_pk_fma_f32 v[114:115], v[64:65], s[6:7], v[98:99]
	v_pk_add_f32 v[82:83], v[82:83], v[110:111]
	v_mov_b32_e32 v113, v85
	v_pk_fma_f32 v[84:85], v[64:65], s[6:7], v[98:99] neg_lo:[0,0,1] neg_hi:[0,0,1]
	v_mov_b32_e32 v101, v115
	v_pk_add_f32 v[82:83], v[82:83], v[112:113]
	v_mov_b32_e32 v115, v85
	v_pk_add_f32 v[82:83], v[82:83], v[114:115]
	global_store_dwordx2 v[56:57], v[82:83], off
	v_pk_mul_f32 v[56:57], v[4:5], s[10:11]
	v_pk_mul_f32 v[86:87], v[32:33], s[48:49]
	v_pk_fma_f32 v[82:83], v[2:3], s[6:7], v[56:57] neg_lo:[1,0,0] neg_hi:[1,0,0]
	v_pk_fma_f32 v[84:85], v[2:3], s[6:7], v[56:57]
	v_pk_fma_f32 v[88:89], v[36:37], s[46:47], v[86:87] neg_lo:[1,0,0] neg_hi:[1,0,0]
	v_mov_b32_e32 v83, v85
	v_pk_fma_f32 v[90:91], v[26:27], s[46:47], v[86:87]
	v_pk_add_f32 v[82:83], v[0:1], v[82:83]
	v_mov_b32_e32 v89, v91
	v_pk_add_f32 v[82:83], v[82:83], v[88:89]
	v_pk_mul_f32 v[88:89], v[38:39], s[8:9]
	v_pk_add_f32 v[74:75], v[74:75], v[100:101]
	v_pk_fma_f32 v[92:93], v[42:43], s[0:1], v[88:89] neg_lo:[1,0,0] neg_hi:[1,0,0]
	v_pk_fma_f32 v[94:95], v[28:29], s[0:1], v[88:89]
	v_pk_fma_f32 v[56:57], v[2:3], s[6:7], v[56:57] neg_lo:[0,0,1] neg_hi:[0,0,1]
	v_mov_b32_e32 v93, v95
	v_pk_add_f32 v[82:83], v[82:83], v[92:93]
	v_pk_mul_f32 v[92:93], v[44:45], s[20:21]
	v_mov_b32_e32 v85, v57
	v_pk_fma_f32 v[96:97], v[48:49], s[12:13], v[92:93] neg_lo:[1,0,0] neg_hi:[1,0,0]
	v_pk_fma_f32 v[98:99], v[34:35], s[12:13], v[92:93]
	v_pk_add_f32 v[56:57], v[0:1], v[84:85]
	v_mov_b32_e32 v97, v99
	v_pk_add_f32 v[82:83], v[82:83], v[96:97]
	v_pk_mul_f32 v[96:97], v[50:51], s[54:55]
	v_pk_fma_f32 v[84:85], v[26:27], s[46:47], v[86:87] neg_lo:[0,0,1] neg_hi:[0,0,1]
	v_pk_fma_f32 v[100:101], v[52:53], s[40:41], v[96:97] neg_lo:[1,0,0] neg_hi:[1,0,0]
	v_pk_fma_f32 v[102:103], v[40:41], s[40:41], v[96:97]
	v_mov_b32_e32 v91, v85
	v_mov_b32_e32 v101, v103
	v_pk_add_f32 v[82:83], v[82:83], v[100:101]
	v_pk_mul_f32 v[100:101], v[58:59], s[24:25]
	v_pk_fma_f32 v[84:85], v[28:29], s[0:1], v[88:89] neg_lo:[0,0,1] neg_hi:[0,0,1]
	v_pk_fma_f32 v[104:105], v[62:63], s[18:19], v[100:101] neg_lo:[1,0,0] neg_hi:[1,0,0]
	v_pk_fma_f32 v[106:107], v[46:47], s[18:19], v[100:101]
	v_pk_add_f32 v[56:57], v[56:57], v[90:91]
	v_mov_b32_e32 v105, v107
	v_pk_add_f32 v[82:83], v[82:83], v[104:105]
	v_pk_mul_f32 v[104:105], v[66:67], s[26:27]
	v_mov_b32_e32 v95, v85
	v_pk_fma_f32 v[84:85], v[34:35], s[12:13], v[92:93] neg_lo:[0,0,1] neg_hi:[0,0,1]
	v_pk_fma_f32 v[108:109], v[68:69], s[16:17], v[104:105] neg_lo:[1,0,0] neg_hi:[1,0,0]
	v_pk_fma_f32 v[110:111], v[54:55], s[16:17], v[104:105]
	v_pk_add_f32 v[56:57], v[56:57], v[94:95]
	v_mov_b32_e32 v99, v85
	v_pk_fma_f32 v[84:85], v[40:41], s[40:41], v[96:97] neg_lo:[0,0,1] neg_hi:[0,0,1]
	v_mov_b32_e32 v109, v111
	v_pk_add_f32 v[56:57], v[56:57], v[98:99]
	v_mov_b32_e32 v103, v85
	v_pk_fma_f32 v[84:85], v[46:47], s[18:19], v[100:101] neg_lo:[0,0,1] neg_hi:[0,0,1]
	v_pk_add_f32 v[82:83], v[82:83], v[108:109]
	v_pk_mul_f32 v[108:109], v[70:71], s[34:35]
	v_pk_add_f32 v[56:57], v[56:57], v[102:103]
	v_mov_b32_e32 v107, v85
	v_pk_fma_f32 v[84:85], v[54:55], s[16:17], v[104:105] neg_lo:[0,0,1] neg_hi:[0,0,1]
	v_pk_fma_f32 v[112:113], v[72:73], s[28:29], v[108:109] op_sel:[1,0,0] neg_lo:[1,0,0] neg_hi:[1,0,0]
	v_pk_fma_f32 v[114:115], v[64:65], s[28:29], v[108:109]
	v_pk_add_f32 v[56:57], v[56:57], v[106:107]
	v_mov_b32_e32 v111, v85
	v_pk_fma_f32 v[84:85], v[64:65], s[28:29], v[108:109] neg_lo:[0,0,1] neg_hi:[0,0,1]
	v_mov_b32_e32 v113, v115
	v_pk_add_f32 v[56:57], v[56:57], v[110:111]
	v_mov_b32_e32 v115, v85
	v_pk_add_f32 v[56:57], v[56:57], v[114:115]
	global_store_dwordx2 v[30:31], v[56:57], off
	v_pk_mul_f32 v[30:31], v[4:5], s[20:21]
	v_pk_mul_f32 v[86:87], v[32:33], s[34:35]
	v_pk_fma_f32 v[56:57], v[2:3], s[12:13], v[30:31] neg_lo:[1,0,0] neg_hi:[1,0,0]
	v_pk_fma_f32 v[84:85], v[2:3], s[12:13], v[30:31]
	v_pk_fma_f32 v[100:101], v[36:37], s[28:29], v[86:87] neg_lo:[1,0,0] neg_hi:[1,0,0]
	v_mov_b32_e32 v57, v85
	v_pk_fma_f32 v[102:103], v[26:27], s[28:29], v[86:87]
	v_pk_add_f32 v[56:57], v[0:1], v[56:57]
	v_pk_mul_f32 v[88:89], v[38:39], s[22:23]
	v_mov_b32_e32 v101, v103
	v_pk_add_f32 v[56:57], v[56:57], v[100:101]
	v_pk_fma_f32 v[100:101], v[42:43], s[14:15], v[88:89] neg_lo:[1,0,0] neg_hi:[1,0,0]
	v_pk_fma_f32 v[104:105], v[28:29], s[14:15], v[88:89]
	v_pk_mul_f32 v[90:91], v[44:45], s[56:57]
	v_mov_b32_e32 v101, v105
	v_pk_add_f32 v[56:57], v[56:57], v[100:101]
	v_pk_fma_f32 v[100:101], v[48:49], s[52:53], v[90:91] neg_lo:[1,0,0] neg_hi:[1,0,0]
	v_pk_fma_f32 v[106:107], v[34:35], s[52:53], v[90:91]
	v_pk_fma_f32 v[30:31], v[2:3], s[12:13], v[30:31] neg_lo:[0,0,1] neg_hi:[0,0,1]
	v_pk_mul_f32 v[92:93], v[50:51], s[8:9]
	v_mov_b32_e32 v101, v107
	v_mov_b32_e32 v85, v31
	v_pk_add_f32 v[56:57], v[56:57], v[100:101]
	v_pk_fma_f32 v[100:101], v[52:53], s[0:1], v[92:93] neg_lo:[1,0,0] neg_hi:[1,0,0]
	v_pk_fma_f32 v[108:109], v[40:41], s[0:1], v[92:93]
	v_pk_add_f32 v[30:31], v[0:1], v[84:85]
	v_pk_fma_f32 v[84:85], v[26:27], s[28:29], v[86:87] neg_lo:[0,0,1] neg_hi:[0,0,1]
	v_pk_mul_f32 v[94:95], v[58:59], s[26:27]
	v_mov_b32_e32 v101, v109
	v_mov_b32_e32 v103, v85
	v_pk_fma_f32 v[84:85], v[28:29], s[14:15], v[88:89] neg_lo:[0,0,1] neg_hi:[0,0,1]
	v_pk_add_f32 v[56:57], v[56:57], v[100:101]
	v_pk_fma_f32 v[100:101], v[62:63], s[16:17], v[94:95] neg_lo:[1,0,0] neg_hi:[1,0,0]
	v_pk_fma_f32 v[110:111], v[46:47], s[16:17], v[94:95]
	v_pk_add_f32 v[30:31], v[30:31], v[102:103]
	v_mov_b32_e32 v105, v85
	v_pk_fma_f32 v[84:85], v[34:35], s[52:53], v[90:91] neg_lo:[0,0,1] neg_hi:[0,0,1]
	v_pk_mul_f32 v[96:97], v[66:67], s[44:45]
	v_mov_b32_e32 v101, v111
	v_pk_add_f32 v[30:31], v[30:31], v[104:105]
	v_mov_b32_e32 v107, v85
	v_pk_fma_f32 v[84:85], v[40:41], s[0:1], v[92:93] neg_lo:[0,0,1] neg_hi:[0,0,1]
	v_pk_add_f32 v[82:83], v[82:83], v[112:113]
	v_pk_add_f32 v[56:57], v[56:57], v[100:101]
	v_pk_fma_f32 v[100:101], v[68:69], s[42:43], v[96:97] neg_lo:[1,0,0] neg_hi:[1,0,0]
	v_pk_fma_f32 v[112:113], v[54:55], s[42:43], v[96:97]
	v_pk_add_f32 v[30:31], v[30:31], v[106:107]
	v_mov_b32_e32 v109, v85
	v_pk_fma_f32 v[84:85], v[46:47], s[16:17], v[94:95] neg_lo:[0,0,1] neg_hi:[0,0,1]
	v_pk_mul_f32 v[98:99], v[70:71], s[4:5]
	v_mov_b32_e32 v101, v113
	v_pk_add_f32 v[30:31], v[30:31], v[108:109]
	v_mov_b32_e32 v111, v85
	v_pk_fma_f32 v[84:85], v[54:55], s[42:43], v[96:97] neg_lo:[0,0,1] neg_hi:[0,0,1]
	v_pk_add_f32 v[56:57], v[56:57], v[100:101]
	v_pk_fma_f32 v[100:101], v[72:73], s[2:3], v[98:99] op_sel:[1,0,0] neg_lo:[1,0,0] neg_hi:[1,0,0]
	v_pk_fma_f32 v[114:115], v[64:65], s[2:3], v[98:99]
	v_pk_add_f32 v[30:31], v[30:31], v[110:111]
	v_mov_b32_e32 v113, v85
	v_pk_fma_f32 v[84:85], v[64:65], s[2:3], v[98:99] neg_lo:[0,0,1] neg_hi:[0,0,1]
	v_mov_b32_e32 v101, v115
	v_pk_add_f32 v[30:31], v[30:31], v[112:113]
	v_mov_b32_e32 v115, v85
	v_pk_add_f32 v[30:31], v[30:31], v[114:115]
	v_pk_mul_f32 v[4:5], v[4:5], s[26:27]
	global_store_dwordx2 v[24:25], v[30:31], off
	v_pk_fma_f32 v[24:25], v[2:3], s[16:17], v[4:5] neg_lo:[1,0,0] neg_hi:[1,0,0]
	v_pk_fma_f32 v[30:31], v[2:3], s[16:17], v[4:5]
	v_pk_mul_f32 v[32:33], v[32:33], s[38:39]
	v_mov_b32_e32 v25, v31
	v_pk_fma_f32 v[36:37], v[36:37], s[30:31], v[32:33] neg_lo:[1,0,0] neg_hi:[1,0,0]
	v_pk_fma_f32 v[84:85], v[26:27], s[30:31], v[32:33]
	v_pk_add_f32 v[24:25], v[0:1], v[24:25]
	v_mov_b32_e32 v37, v85
	v_pk_add_f32 v[24:25], v[24:25], v[36:37]
	v_pk_mul_f32 v[36:37], v[38:39], s[20:21]
	v_pk_fma_f32 v[2:3], v[2:3], s[16:17], v[4:5] neg_lo:[0,0,1] neg_hi:[0,0,1]
	v_pk_fma_f32 v[38:39], v[42:43], s[12:13], v[36:37] neg_lo:[1,0,0] neg_hi:[1,0,0]
	v_pk_fma_f32 v[42:43], v[28:29], s[12:13], v[36:37]
	v_mov_b32_e32 v31, v3
	v_mov_b32_e32 v39, v43
	v_pk_add_f32 v[24:25], v[24:25], v[38:39]
	v_pk_mul_f32 v[38:39], v[44:45], s[44:45]
	v_pk_fma_f32 v[2:3], v[26:27], s[30:31], v[32:33] neg_lo:[0,0,1] neg_hi:[0,0,1]
	v_pk_fma_f32 v[44:45], v[48:49], s[42:43], v[38:39] neg_lo:[1,0,0] neg_hi:[1,0,0]
	v_pk_fma_f32 v[48:49], v[34:35], s[42:43], v[38:39]
	v_pk_add_f32 v[0:1], v[0:1], v[30:31]
	v_mov_b32_e32 v45, v49
	v_pk_add_f32 v[24:25], v[24:25], v[44:45]
	v_pk_mul_f32 v[44:45], v[50:51], s[10:11]
	v_mov_b32_e32 v85, v3
	v_pk_fma_f32 v[50:51], v[52:53], s[6:7], v[44:45] neg_lo:[1,0,0] neg_hi:[1,0,0]
	v_pk_fma_f32 v[52:53], v[40:41], s[6:7], v[44:45]
	v_pk_fma_f32 v[2:3], v[28:29], s[12:13], v[36:37] neg_lo:[0,0,1] neg_hi:[0,0,1]
	v_mov_b32_e32 v51, v53
	v_pk_add_f32 v[24:25], v[24:25], v[50:51]
	v_pk_mul_f32 v[50:51], v[58:59], s[34:35]
	v_pk_add_f32 v[0:1], v[0:1], v[84:85]
	v_pk_fma_f32 v[58:59], v[62:63], s[28:29], v[50:51] neg_lo:[1,0,0] neg_hi:[1,0,0]
	v_pk_fma_f32 v[62:63], v[46:47], s[28:29], v[50:51]
	v_mov_b32_e32 v43, v3
	v_mov_b32_e32 v59, v63
	v_pk_add_f32 v[24:25], v[24:25], v[58:59]
	v_pk_mul_f32 v[58:59], v[66:67], s[4:5]
	v_pk_fma_f32 v[2:3], v[34:35], s[42:43], v[38:39] neg_lo:[0,0,1] neg_hi:[0,0,1]
	v_pk_fma_f32 v[66:67], v[68:69], s[2:3], v[58:59] neg_lo:[1,0,0] neg_hi:[1,0,0]
	v_pk_fma_f32 v[68:69], v[54:55], s[2:3], v[58:59]
	v_pk_add_f32 v[0:1], v[0:1], v[42:43]
	v_mov_b32_e32 v49, v3
	v_pk_fma_f32 v[2:3], v[40:41], s[6:7], v[44:45] neg_lo:[0,0,1] neg_hi:[0,0,1]
	v_mov_b32_e32 v67, v69
	v_pk_add_f32 v[0:1], v[0:1], v[48:49]
	v_mov_b32_e32 v53, v3
	v_pk_fma_f32 v[2:3], v[46:47], s[28:29], v[50:51] neg_lo:[0,0,1] neg_hi:[0,0,1]
	v_pk_add_f32 v[24:25], v[24:25], v[66:67]
	v_pk_mul_f32 v[66:67], v[70:71], s[54:55]
	v_pk_add_f32 v[0:1], v[0:1], v[52:53]
	v_mov_b32_e32 v63, v3
	v_pk_fma_f32 v[2:3], v[54:55], s[2:3], v[58:59] neg_lo:[0,0,1] neg_hi:[0,0,1]
	v_pk_fma_f32 v[70:71], v[72:73], s[40:41], v[66:67] op_sel:[1,0,0] neg_lo:[1,0,0] neg_hi:[1,0,0]
	v_pk_fma_f32 v[72:73], v[64:65], s[40:41], v[66:67]
	v_pk_add_f32 v[0:1], v[0:1], v[62:63]
	v_mov_b32_e32 v69, v3
	v_pk_fma_f32 v[2:3], v[64:65], s[40:41], v[66:67] neg_lo:[0,0,1] neg_hi:[0,0,1]
	v_mov_b32_e32 v71, v73
	v_pk_add_f32 v[0:1], v[0:1], v[68:69]
	v_mov_b32_e32 v73, v3
	v_pk_add_f32 v[0:1], v[0:1], v[72:73]
	v_pk_add_f32 v[56:57], v[56:57], v[100:101]
	;; [unrolled: 1-line block ×3, first 2 shown]
	global_store_dwordx2 v[6:7], v[0:1], off
	global_store_dwordx2 v[8:9], v[24:25], off
	;; [unrolled: 1-line block ×9, first 2 shown]
.LBB0_23:
	s_endpgm
	.section	.rodata,"a",@progbits
	.p2align	6, 0x0
	.amdhsa_kernel fft_rtc_back_len2023_factors_17_7_17_wgs_119_tpt_119_halfLds_sp_op_CI_CI_sbrr_dirReg
		.amdhsa_group_segment_fixed_size 0
		.amdhsa_private_segment_fixed_size 0
		.amdhsa_kernarg_size 104
		.amdhsa_user_sgpr_count 2
		.amdhsa_user_sgpr_dispatch_ptr 0
		.amdhsa_user_sgpr_queue_ptr 0
		.amdhsa_user_sgpr_kernarg_segment_ptr 1
		.amdhsa_user_sgpr_dispatch_id 0
		.amdhsa_user_sgpr_kernarg_preload_length 0
		.amdhsa_user_sgpr_kernarg_preload_offset 0
		.amdhsa_user_sgpr_private_segment_size 0
		.amdhsa_uses_dynamic_stack 0
		.amdhsa_enable_private_segment 0
		.amdhsa_system_sgpr_workgroup_id_x 1
		.amdhsa_system_sgpr_workgroup_id_y 0
		.amdhsa_system_sgpr_workgroup_id_z 0
		.amdhsa_system_sgpr_workgroup_info 0
		.amdhsa_system_vgpr_workitem_id 0
		.amdhsa_next_free_vgpr 130
		.amdhsa_next_free_sgpr 94
		.amdhsa_accum_offset 132
		.amdhsa_reserve_vcc 1
		.amdhsa_float_round_mode_32 0
		.amdhsa_float_round_mode_16_64 0
		.amdhsa_float_denorm_mode_32 3
		.amdhsa_float_denorm_mode_16_64 3
		.amdhsa_dx10_clamp 1
		.amdhsa_ieee_mode 1
		.amdhsa_fp16_overflow 0
		.amdhsa_tg_split 0
		.amdhsa_exception_fp_ieee_invalid_op 0
		.amdhsa_exception_fp_denorm_src 0
		.amdhsa_exception_fp_ieee_div_zero 0
		.amdhsa_exception_fp_ieee_overflow 0
		.amdhsa_exception_fp_ieee_underflow 0
		.amdhsa_exception_fp_ieee_inexact 0
		.amdhsa_exception_int_div_zero 0
	.end_amdhsa_kernel
	.text
.Lfunc_end0:
	.size	fft_rtc_back_len2023_factors_17_7_17_wgs_119_tpt_119_halfLds_sp_op_CI_CI_sbrr_dirReg, .Lfunc_end0-fft_rtc_back_len2023_factors_17_7_17_wgs_119_tpt_119_halfLds_sp_op_CI_CI_sbrr_dirReg
                                        ; -- End function
	.section	.AMDGPU.csdata,"",@progbits
; Kernel info:
; codeLenInByte = 15680
; NumSgprs: 100
; NumVgprs: 130
; NumAgprs: 0
; TotalNumVgprs: 130
; ScratchSize: 0
; MemoryBound: 0
; FloatMode: 240
; IeeeMode: 1
; LDSByteSize: 0 bytes/workgroup (compile time only)
; SGPRBlocks: 12
; VGPRBlocks: 16
; NumSGPRsForWavesPerEU: 100
; NumVGPRsForWavesPerEU: 130
; AccumOffset: 132
; Occupancy: 3
; WaveLimiterHint : 1
; COMPUTE_PGM_RSRC2:SCRATCH_EN: 0
; COMPUTE_PGM_RSRC2:USER_SGPR: 2
; COMPUTE_PGM_RSRC2:TRAP_HANDLER: 0
; COMPUTE_PGM_RSRC2:TGID_X_EN: 1
; COMPUTE_PGM_RSRC2:TGID_Y_EN: 0
; COMPUTE_PGM_RSRC2:TGID_Z_EN: 0
; COMPUTE_PGM_RSRC2:TIDIG_COMP_CNT: 0
; COMPUTE_PGM_RSRC3_GFX90A:ACCUM_OFFSET: 32
; COMPUTE_PGM_RSRC3_GFX90A:TG_SPLIT: 0
	.text
	.p2alignl 6, 3212836864
	.fill 256, 4, 3212836864
	.type	__hip_cuid_de48fcfeecc89c8b,@object ; @__hip_cuid_de48fcfeecc89c8b
	.section	.bss,"aw",@nobits
	.globl	__hip_cuid_de48fcfeecc89c8b
__hip_cuid_de48fcfeecc89c8b:
	.byte	0                               ; 0x0
	.size	__hip_cuid_de48fcfeecc89c8b, 1

	.ident	"AMD clang version 19.0.0git (https://github.com/RadeonOpenCompute/llvm-project roc-6.4.0 25133 c7fe45cf4b819c5991fe208aaa96edf142730f1d)"
	.section	".note.GNU-stack","",@progbits
	.addrsig
	.addrsig_sym __hip_cuid_de48fcfeecc89c8b
	.amdgpu_metadata
---
amdhsa.kernels:
  - .agpr_count:     0
    .args:
      - .actual_access:  read_only
        .address_space:  global
        .offset:         0
        .size:           8
        .value_kind:     global_buffer
      - .offset:         8
        .size:           8
        .value_kind:     by_value
      - .actual_access:  read_only
        .address_space:  global
        .offset:         16
        .size:           8
        .value_kind:     global_buffer
      - .actual_access:  read_only
        .address_space:  global
        .offset:         24
        .size:           8
        .value_kind:     global_buffer
      - .actual_access:  read_only
        .address_space:  global
        .offset:         32
        .size:           8
        .value_kind:     global_buffer
      - .offset:         40
        .size:           8
        .value_kind:     by_value
      - .actual_access:  read_only
        .address_space:  global
        .offset:         48
        .size:           8
        .value_kind:     global_buffer
      - .actual_access:  read_only
        .address_space:  global
        .offset:         56
        .size:           8
        .value_kind:     global_buffer
      - .offset:         64
        .size:           4
        .value_kind:     by_value
      - .actual_access:  read_only
        .address_space:  global
        .offset:         72
        .size:           8
        .value_kind:     global_buffer
      - .actual_access:  read_only
        .address_space:  global
        .offset:         80
        .size:           8
        .value_kind:     global_buffer
      - .actual_access:  read_only
        .address_space:  global
        .offset:         88
        .size:           8
        .value_kind:     global_buffer
      - .actual_access:  write_only
        .address_space:  global
        .offset:         96
        .size:           8
        .value_kind:     global_buffer
    .group_segment_fixed_size: 0
    .kernarg_segment_align: 8
    .kernarg_segment_size: 104
    .language:       OpenCL C
    .language_version:
      - 2
      - 0
    .max_flat_workgroup_size: 119
    .name:           fft_rtc_back_len2023_factors_17_7_17_wgs_119_tpt_119_halfLds_sp_op_CI_CI_sbrr_dirReg
    .private_segment_fixed_size: 0
    .sgpr_count:     100
    .sgpr_spill_count: 0
    .symbol:         fft_rtc_back_len2023_factors_17_7_17_wgs_119_tpt_119_halfLds_sp_op_CI_CI_sbrr_dirReg.kd
    .uniform_work_group_size: 1
    .uses_dynamic_stack: false
    .vgpr_count:     130
    .vgpr_spill_count: 0
    .wavefront_size: 64
amdhsa.target:   amdgcn-amd-amdhsa--gfx950
amdhsa.version:
  - 1
  - 2
...

	.end_amdgpu_metadata
